;; amdgpu-corpus repo=ROCm/rocSPARSE kind=compiled arch=gfx1250 opt=O3
	.amdgcn_target "amdgcn-amd-amdhsa--gfx1250"
	.amdhsa_code_object_version 6
	.section	.text._ZN9rocsparseL16bsrsm_copy_scaleILj1024EfEEviiNS_24const_host_device_scalarIT0_EEPKS2_lPS2_lb,"axG",@progbits,_ZN9rocsparseL16bsrsm_copy_scaleILj1024EfEEviiNS_24const_host_device_scalarIT0_EEPKS2_lPS2_lb,comdat
	.globl	_ZN9rocsparseL16bsrsm_copy_scaleILj1024EfEEviiNS_24const_host_device_scalarIT0_EEPKS2_lPS2_lb ; -- Begin function _ZN9rocsparseL16bsrsm_copy_scaleILj1024EfEEviiNS_24const_host_device_scalarIT0_EEPKS2_lPS2_lb
	.p2align	8
	.type	_ZN9rocsparseL16bsrsm_copy_scaleILj1024EfEEviiNS_24const_host_device_scalarIT0_EEPKS2_lPS2_lb,@function
_ZN9rocsparseL16bsrsm_copy_scaleILj1024EfEEviiNS_24const_host_device_scalarIT0_EEPKS2_lPS2_lb: ; @_ZN9rocsparseL16bsrsm_copy_scaleILj1024EfEEviiNS_24const_host_device_scalarIT0_EEPKS2_lPS2_lb
; %bb.0:
	s_clause 0x1
	s_load_b32 s2, s[0:1], 0x30
	s_load_b256 s[4:11], s[0:1], 0x8
	s_wait_kmcnt 0x0
	s_bitcmp1_b32 s2, 0
	s_cselect_b32 s2, -1, 0
	s_delay_alu instid0(SALU_CYCLE_1)
	s_and_b32 vcc_lo, exec_lo, s2
	s_cbranch_vccnz .LBB0_2
; %bb.1:
	s_load_b32 s4, s[4:5], 0x0
.LBB0_2:
	s_wait_xcnt 0x0
	s_clause 0x1
	s_load_b32 s5, s[0:1], 0x44
	s_load_b64 s[2:3], s[0:1], 0x0
	s_bfe_u32 s12, ttmp6, 0x4000c
	s_and_b32 s13, ttmp6, 15
	s_add_co_i32 s12, s12, 1
	s_getreg_b32 s14, hwreg(HW_REG_IB_STS2, 6, 4)
	s_mul_i32 s12, ttmp9, s12
	s_delay_alu instid0(SALU_CYCLE_1)
	s_add_co_i32 s13, s13, s12
	s_wait_kmcnt 0x0
	s_and_b32 s5, s5, 0xffff
	s_cmp_eq_u32 s14, 0
	s_cselect_b32 s12, ttmp9, s13
	s_cmp_gt_i32 s3, 0
	v_mad_u32 v0, s12, s5, v0
	s_delay_alu instid0(VALU_DEP_1) | instskip(SKIP_1) | instid1(SALU_CYCLE_1)
	v_cmp_gt_i32_e32 vcc_lo, s2, v0
	s_cselect_b32 s2, -1, 0
	s_and_b32 s2, s2, vcc_lo
	s_delay_alu instid0(SALU_CYCLE_1)
	s_and_saveexec_b32 s5, s2
	s_cbranch_execz .LBB0_5
; %bb.3:
	s_load_b64 s[0:1], s[0:1], 0x28
	v_ashrrev_i32_e32 v1, 31, v0
	s_delay_alu instid0(VALU_DEP_1) | instskip(SKIP_2) | instid1(VALU_DEP_2)
	v_mul_u64_e32 v[2:3], s[8:9], v[0:1]
	s_wait_kmcnt 0x0
	v_mul_u64_e32 v[4:5], s[0:1], v[0:1]
	v_lshl_add_u64 v[0:1], v[2:3], 2, s[6:7]
	s_delay_alu instid0(VALU_DEP_2)
	v_lshl_add_u64 v[2:3], v[4:5], 2, s[10:11]
.LBB0_4:                                ; =>This Inner Loop Header: Depth=1
	global_load_b32 v4, v[0:1], off
	s_wait_xcnt 0x0
	v_add_nc_u64_e32 v[0:1], 4, v[0:1]
	s_add_co_i32 s3, s3, -1
	s_delay_alu instid0(SALU_CYCLE_1)
	s_cmp_lg_u32 s3, 0
	s_wait_loadcnt 0x0
	v_mul_f32_e32 v4, s4, v4
	global_store_b32 v[2:3], v4, off
	s_wait_xcnt 0x0
	v_add_nc_u64_e32 v[2:3], 4, v[2:3]
	s_cbranch_scc1 .LBB0_4
.LBB0_5:
	s_endpgm
	.section	.rodata,"a",@progbits
	.p2align	6, 0x0
	.amdhsa_kernel _ZN9rocsparseL16bsrsm_copy_scaleILj1024EfEEviiNS_24const_host_device_scalarIT0_EEPKS2_lPS2_lb
		.amdhsa_group_segment_fixed_size 0
		.amdhsa_private_segment_fixed_size 0
		.amdhsa_kernarg_size 312
		.amdhsa_user_sgpr_count 2
		.amdhsa_user_sgpr_dispatch_ptr 0
		.amdhsa_user_sgpr_queue_ptr 0
		.amdhsa_user_sgpr_kernarg_segment_ptr 1
		.amdhsa_user_sgpr_dispatch_id 0
		.amdhsa_user_sgpr_kernarg_preload_length 0
		.amdhsa_user_sgpr_kernarg_preload_offset 0
		.amdhsa_user_sgpr_private_segment_size 0
		.amdhsa_wavefront_size32 1
		.amdhsa_uses_dynamic_stack 0
		.amdhsa_enable_private_segment 0
		.amdhsa_system_sgpr_workgroup_id_x 1
		.amdhsa_system_sgpr_workgroup_id_y 0
		.amdhsa_system_sgpr_workgroup_id_z 0
		.amdhsa_system_sgpr_workgroup_info 0
		.amdhsa_system_vgpr_workitem_id 0
		.amdhsa_next_free_vgpr 6
		.amdhsa_next_free_sgpr 15
		.amdhsa_named_barrier_count 0
		.amdhsa_reserve_vcc 1
		.amdhsa_float_round_mode_32 0
		.amdhsa_float_round_mode_16_64 0
		.amdhsa_float_denorm_mode_32 3
		.amdhsa_float_denorm_mode_16_64 3
		.amdhsa_fp16_overflow 0
		.amdhsa_memory_ordered 1
		.amdhsa_forward_progress 1
		.amdhsa_inst_pref_size 3
		.amdhsa_round_robin_scheduling 0
		.amdhsa_exception_fp_ieee_invalid_op 0
		.amdhsa_exception_fp_denorm_src 0
		.amdhsa_exception_fp_ieee_div_zero 0
		.amdhsa_exception_fp_ieee_overflow 0
		.amdhsa_exception_fp_ieee_underflow 0
		.amdhsa_exception_fp_ieee_inexact 0
		.amdhsa_exception_int_div_zero 0
	.end_amdhsa_kernel
	.section	.text._ZN9rocsparseL16bsrsm_copy_scaleILj1024EfEEviiNS_24const_host_device_scalarIT0_EEPKS2_lPS2_lb,"axG",@progbits,_ZN9rocsparseL16bsrsm_copy_scaleILj1024EfEEviiNS_24const_host_device_scalarIT0_EEPKS2_lPS2_lb,comdat
.Lfunc_end0:
	.size	_ZN9rocsparseL16bsrsm_copy_scaleILj1024EfEEviiNS_24const_host_device_scalarIT0_EEPKS2_lPS2_lb, .Lfunc_end0-_ZN9rocsparseL16bsrsm_copy_scaleILj1024EfEEviiNS_24const_host_device_scalarIT0_EEPKS2_lPS2_lb
                                        ; -- End function
	.set _ZN9rocsparseL16bsrsm_copy_scaleILj1024EfEEviiNS_24const_host_device_scalarIT0_EEPKS2_lPS2_lb.num_vgpr, 6
	.set _ZN9rocsparseL16bsrsm_copy_scaleILj1024EfEEviiNS_24const_host_device_scalarIT0_EEPKS2_lPS2_lb.num_agpr, 0
	.set _ZN9rocsparseL16bsrsm_copy_scaleILj1024EfEEviiNS_24const_host_device_scalarIT0_EEPKS2_lPS2_lb.numbered_sgpr, 15
	.set _ZN9rocsparseL16bsrsm_copy_scaleILj1024EfEEviiNS_24const_host_device_scalarIT0_EEPKS2_lPS2_lb.num_named_barrier, 0
	.set _ZN9rocsparseL16bsrsm_copy_scaleILj1024EfEEviiNS_24const_host_device_scalarIT0_EEPKS2_lPS2_lb.private_seg_size, 0
	.set _ZN9rocsparseL16bsrsm_copy_scaleILj1024EfEEviiNS_24const_host_device_scalarIT0_EEPKS2_lPS2_lb.uses_vcc, 1
	.set _ZN9rocsparseL16bsrsm_copy_scaleILj1024EfEEviiNS_24const_host_device_scalarIT0_EEPKS2_lPS2_lb.uses_flat_scratch, 0
	.set _ZN9rocsparseL16bsrsm_copy_scaleILj1024EfEEviiNS_24const_host_device_scalarIT0_EEPKS2_lPS2_lb.has_dyn_sized_stack, 0
	.set _ZN9rocsparseL16bsrsm_copy_scaleILj1024EfEEviiNS_24const_host_device_scalarIT0_EEPKS2_lPS2_lb.has_recursion, 0
	.set _ZN9rocsparseL16bsrsm_copy_scaleILj1024EfEEviiNS_24const_host_device_scalarIT0_EEPKS2_lPS2_lb.has_indirect_call, 0
	.section	.AMDGPU.csdata,"",@progbits
; Kernel info:
; codeLenInByte = 284
; TotalNumSgprs: 17
; NumVgprs: 6
; ScratchSize: 0
; MemoryBound: 0
; FloatMode: 240
; IeeeMode: 1
; LDSByteSize: 0 bytes/workgroup (compile time only)
; SGPRBlocks: 0
; VGPRBlocks: 0
; NumSGPRsForWavesPerEU: 17
; NumVGPRsForWavesPerEU: 6
; NamedBarCnt: 0
; Occupancy: 16
; WaveLimiterHint : 0
; COMPUTE_PGM_RSRC2:SCRATCH_EN: 0
; COMPUTE_PGM_RSRC2:USER_SGPR: 2
; COMPUTE_PGM_RSRC2:TRAP_HANDLER: 0
; COMPUTE_PGM_RSRC2:TGID_X_EN: 1
; COMPUTE_PGM_RSRC2:TGID_Y_EN: 0
; COMPUTE_PGM_RSRC2:TGID_Z_EN: 0
; COMPUTE_PGM_RSRC2:TIDIG_COMP_CNT: 0
	.section	.text._ZN9rocsparseL10bsr_gatherILj4ELj64ELj2EifEEv20rocsparse_direction_T2_PKS2_PKT3_PS5_S2_,"axG",@progbits,_ZN9rocsparseL10bsr_gatherILj4ELj64ELj2EifEEv20rocsparse_direction_T2_PKS2_PKT3_PS5_S2_,comdat
	.globl	_ZN9rocsparseL10bsr_gatherILj4ELj64ELj2EifEEv20rocsparse_direction_T2_PKS2_PKT3_PS5_S2_ ; -- Begin function _ZN9rocsparseL10bsr_gatherILj4ELj64ELj2EifEEv20rocsparse_direction_T2_PKS2_PKT3_PS5_S2_
	.p2align	8
	.type	_ZN9rocsparseL10bsr_gatherILj4ELj64ELj2EifEEv20rocsparse_direction_T2_PKS2_PKT3_PS5_S2_,@function
_ZN9rocsparseL10bsr_gatherILj4ELj64ELj2EifEEv20rocsparse_direction_T2_PKS2_PKT3_PS5_S2_: ; @_ZN9rocsparseL10bsr_gatherILj4ELj64ELj2EifEEv20rocsparse_direction_T2_PKS2_PKT3_PS5_S2_
; %bb.0:
	s_load_b64 s[2:3], s[0:1], 0x0
	s_bfe_u32 s4, ttmp6, 0x4000c
	s_and_b32 s5, ttmp6, 15
	s_add_co_i32 s4, s4, 1
	v_bfe_u32 v1, v0, 10, 10
	s_mul_i32 s4, ttmp9, s4
	s_delay_alu instid0(SALU_CYCLE_1) | instskip(SKIP_1) | instid1(SALU_CYCLE_1)
	s_add_co_i32 s5, s5, s4
	s_getreg_b32 s4, hwreg(HW_REG_IB_STS2, 6, 4)
	s_cmp_eq_u32 s4, 0
	s_cselect_b32 s4, ttmp9, s5
	s_delay_alu instid0(SALU_CYCLE_1) | instskip(SKIP_1) | instid1(VALU_DEP_1)
	v_lshl_add_u32 v1, s4, 6, v1
	s_wait_kmcnt 0x0
	v_cmp_gt_i32_e32 vcc_lo, s3, v1
	s_and_saveexec_b32 s3, vcc_lo
	s_cbranch_execz .LBB1_20
; %bb.1:
	s_load_b32 s10, s[0:1], 0x20
	v_and_b32_e32 v2, 1, v0
	s_wait_kmcnt 0x0
	s_delay_alu instid0(VALU_DEP_1)
	v_cmp_gt_i32_e32 vcc_lo, s10, v2
	s_and_b32 exec_lo, exec_lo, vcc_lo
	s_cbranch_execz .LBB1_20
; %bb.2:
	s_clause 0x1
	s_load_b128 s[4:7], s[0:1], 0x8
	s_load_b64 s[8:9], s[0:1], 0x18
	v_and_b32_e32 v0, 0x3ff, v0
	v_mul_lo_u32 v4, s10, v1
	s_cmp_lg_u32 s2, 0
	s_mov_b32 s11, s10
	s_delay_alu instid0(VALU_DEP_2) | instskip(NEXT) | instid1(VALU_DEP_1)
	v_lshrrev_b32_e32 v0, 1, v0
	v_xad_u32 v5, v0, -1, s10
	s_wait_xcnt 0x0
	s_delay_alu instid0(VALU_DEP_1)
	v_cmp_lt_u32_e64 s1, 1, v5
	s_wait_kmcnt 0x0
	global_load_b32 v3, v1, s[4:5] scale_offset
	s_wait_xcnt 0x0
	v_lshrrev_b32_e32 v1, 1, v5
	v_cmp_gt_u32_e64 s0, s10, v0
	s_cselect_b32 s5, -1, 0
	s_cmp_eq_u32 s2, 0
	s_mov_b32 s4, 0
	v_dual_add_nc_u32 v7, 1, v1 :: v_dual_add_nc_u32 v1, v4, v2
	s_cselect_b32 s3, -1, 0
	s_lshl_b32 s12, s10, 1
	s_delay_alu instid0(VALU_DEP_1) | instskip(NEXT) | instid1(VALU_DEP_2)
	v_dual_mov_b32 v5, v4 :: v_dual_bitop2_b32 v14, -2, v7 bitop3:0x40
	v_mul_lo_u32 v15, s10, v1
	v_add_nc_u32_e32 v1, 2, v0
	s_delay_alu instid0(VALU_DEP_3) | instskip(SKIP_3) | instid1(VALU_DEP_1)
	v_lshl_add_u32 v17, v14, 1, v0
	v_cmp_ne_u32_e64 s2, v7, v14
	s_wait_loadcnt 0x0
	v_mul_lo_u32 v6, v3, s10
	v_add_nc_u32_e32 v3, v6, v2
	s_delay_alu instid0(VALU_DEP_1)
	v_mul_lo_u32 v16, s10, v3
	v_mov_b32_e32 v3, v6
	s_branch .LBB1_4
.LBB1_3:                                ;   in Loop: Header=BB1_4 Depth=1
	s_or_b32 exec_lo, exec_lo, s13
	v_dual_add_nc_u32 v2, 2, v2 :: v_dual_add_nc_u32 v15, s12, v15
	s_delay_alu instid0(VALU_DEP_3) | instskip(NEXT) | instid1(VALU_DEP_2)
	v_add_nc_u32_e32 v16, s12, v16
	v_cmp_le_i32_e32 vcc_lo, s10, v2
	s_or_b32 s4, vcc_lo, s4
	s_delay_alu instid0(SALU_CYCLE_1)
	s_and_not1_b32 exec_lo, exec_lo, s4
	s_cbranch_execz .LBB1_20
.LBB1_4:                                ; =>This Loop Header: Depth=1
                                        ;     Child Loop BB1_7 Depth 2
                                        ;     Child Loop BB1_12 Depth 2
	s_and_saveexec_b32 s13, s0
	s_cbranch_execz .LBB1_3
; %bb.5:                                ;   in Loop: Header=BB1_4 Depth=1
	v_mov_b32_e32 v7, v0
	s_mov_b32 s15, -1
	s_and_saveexec_b32 s14, s1
	s_cbranch_execz .LBB1_9
; %bb.6:                                ;   in Loop: Header=BB1_4 Depth=1
	v_dual_add_nc_u32 v7, v2, v6 :: v_dual_add_nc_u32 v9, v2, v4
	v_mov_b64_e32 v[12:13], v[0:1]
	s_mov_b32 s15, 0
	v_mov_b32_e32 v18, v14
	s_delay_alu instid0(VALU_DEP_3) | instskip(SKIP_1) | instid1(VALU_DEP_2)
	v_mul_lo_u32 v8, v7, s10
	v_mul_lo_u32 v10, v9, s10
	v_dual_mov_b32 v7, v2 :: v_dual_mov_b32 v9, v8
	s_delay_alu instid0(VALU_DEP_2)
	v_mov_b32_e32 v11, v10
.LBB1_7:                                ;   Parent Loop BB1_4 Depth=1
                                        ; =>  This Inner Loop Header: Depth=2
	v_dual_add_nc_u32 v19, v12, v6 :: v_dual_add_nc_u32 v20, v13, v3
	s_delay_alu instid0(VALU_DEP_3) | instskip(NEXT) | instid1(VALU_DEP_3)
	v_dual_add_nc_u32 v21, v12, v8 :: v_dual_add_nc_u32 v22, v13, v9
	v_dual_add_nc_u32 v18, -2, v18 :: v_dual_add_nc_u32 v24, v13, v11
	s_delay_alu instid0(VALU_DEP_3) | instskip(NEXT) | instid1(VALU_DEP_4)
	v_mad_u32 v19, v19, s10, v2
	v_mad_u32 v20, v20, s11, v7
	v_add_nc_u32_e32 v23, v12, v10
	s_delay_alu instid0(VALU_DEP_4) | instskip(SKIP_1) | instid1(VALU_DEP_3)
	v_cmp_eq_u32_e32 vcc_lo, 0, v18
	s_or_b32 s15, vcc_lo, s15
	v_dual_cndmask_b32 v19, v21, v19, s3 :: v_dual_cndmask_b32 v20, v22, v20, s3
	s_clause 0x1
	global_load_b32 v21, v19, s[6:7] scale_offset
	global_load_b32 v22, v20, s[6:7] scale_offset
	s_wait_xcnt 0x0
	v_dual_add_nc_u32 v19, v12, v4 :: v_dual_add_nc_u32 v20, v13, v5
	v_dual_add_nc_u32 v13, 4, v13 :: v_dual_add_nc_u32 v12, 4, v12
	s_delay_alu instid0(VALU_DEP_2) | instskip(NEXT) | instid1(VALU_DEP_3)
	v_mad_u32 v19, v19, s10, v2
	v_mad_u32 v20, v20, s11, v7
	s_delay_alu instid0(VALU_DEP_1)
	v_dual_cndmask_b32 v19, v19, v23, s3 :: v_dual_cndmask_b32 v20, v20, v24, s3
	s_wait_loadcnt 0x1
	global_store_b32 v19, v21, s[8:9] scale_offset
	s_wait_loadcnt 0x0
	global_store_b32 v20, v22, s[8:9] scale_offset
	s_wait_xcnt 0x0
	s_and_not1_b32 exec_lo, exec_lo, s15
	s_cbranch_execnz .LBB1_7
; %bb.8:                                ;   in Loop: Header=BB1_4 Depth=1
	s_or_b32 exec_lo, exec_lo, s15
	v_mov_b32_e32 v7, v17
	s_or_not1_b32 s15, s2, exec_lo
.LBB1_9:                                ;   in Loop: Header=BB1_4 Depth=1
	s_or_b32 exec_lo, exec_lo, s14
	s_delay_alu instid0(SALU_CYCLE_1)
	s_and_b32 exec_lo, exec_lo, s15
	s_cbranch_execz .LBB1_3
; %bb.10:                               ;   in Loop: Header=BB1_4 Depth=1
	s_mov_b32 s14, 0
	s_branch .LBB1_12
.LBB1_11:                               ;   in Loop: Header=BB1_12 Depth=2
	v_add_nc_u32_e32 v7, 2, v7
	s_wait_loadcnt 0x0
	global_store_b32 v9, v8, s[8:9] scale_offset
	v_cmp_le_i32_e32 vcc_lo, s10, v7
	s_or_b32 s14, vcc_lo, s14
	s_wait_xcnt 0x0
	s_and_not1_b32 exec_lo, exec_lo, s14
	s_cbranch_execz .LBB1_3
.LBB1_12:                               ;   Parent Loop BB1_4 Depth=1
                                        ; =>  This Inner Loop Header: Depth=2
	s_and_b32 vcc_lo, exec_lo, s5
	s_mov_b32 s15, -1
                                        ; implicit-def: $vgpr8
	s_cbranch_vccz .LBB1_14
; %bb.13:                               ;   in Loop: Header=BB1_12 Depth=2
	v_add_nc_u32_e32 v8, v16, v7
	s_cbranch_execnz .LBB1_16
	s_branch .LBB1_15
.LBB1_14:                               ;   in Loop: Header=BB1_12 Depth=2
	s_and_not1_b32 vcc_lo, exec_lo, s15
	s_cbranch_vccnz .LBB1_16
.LBB1_15:                               ;   in Loop: Header=BB1_12 Depth=2
	v_add_nc_u32_e32 v8, v7, v6
	s_delay_alu instid0(VALU_DEP_1)
	v_mad_u32 v8, v8, s10, v2
.LBB1_16:                               ;   in Loop: Header=BB1_12 Depth=2
	global_load_b32 v8, v8, s[6:7] scale_offset
	s_and_b32 vcc_lo, exec_lo, s5
	s_mov_b32 s15, -1
                                        ; implicit-def: $vgpr9
	s_cbranch_vccz .LBB1_18
; %bb.17:                               ;   in Loop: Header=BB1_12 Depth=2
	v_add_nc_u32_e32 v9, v7, v4
	s_delay_alu instid0(VALU_DEP_1)
	v_mad_u32 v9, v9, s10, v2
	s_cbranch_execnz .LBB1_11
	s_branch .LBB1_19
.LBB1_18:                               ;   in Loop: Header=BB1_12 Depth=2
	s_and_not1_b32 vcc_lo, exec_lo, s15
	s_cbranch_vccnz .LBB1_11
.LBB1_19:                               ;   in Loop: Header=BB1_12 Depth=2
	v_add_nc_u32_e32 v9, v15, v7
	s_branch .LBB1_11
.LBB1_20:
	s_endpgm
	.section	.rodata,"a",@progbits
	.p2align	6, 0x0
	.amdhsa_kernel _ZN9rocsparseL10bsr_gatherILj4ELj64ELj2EifEEv20rocsparse_direction_T2_PKS2_PKT3_PS5_S2_
		.amdhsa_group_segment_fixed_size 0
		.amdhsa_private_segment_fixed_size 0
		.amdhsa_kernarg_size 36
		.amdhsa_user_sgpr_count 2
		.amdhsa_user_sgpr_dispatch_ptr 0
		.amdhsa_user_sgpr_queue_ptr 0
		.amdhsa_user_sgpr_kernarg_segment_ptr 1
		.amdhsa_user_sgpr_dispatch_id 0
		.amdhsa_user_sgpr_kernarg_preload_length 0
		.amdhsa_user_sgpr_kernarg_preload_offset 0
		.amdhsa_user_sgpr_private_segment_size 0
		.amdhsa_wavefront_size32 1
		.amdhsa_uses_dynamic_stack 0
		.amdhsa_enable_private_segment 0
		.amdhsa_system_sgpr_workgroup_id_x 1
		.amdhsa_system_sgpr_workgroup_id_y 0
		.amdhsa_system_sgpr_workgroup_id_z 0
		.amdhsa_system_sgpr_workgroup_info 0
		.amdhsa_system_vgpr_workitem_id 1
		.amdhsa_next_free_vgpr 25
		.amdhsa_next_free_sgpr 16
		.amdhsa_named_barrier_count 0
		.amdhsa_reserve_vcc 1
		.amdhsa_float_round_mode_32 0
		.amdhsa_float_round_mode_16_64 0
		.amdhsa_float_denorm_mode_32 3
		.amdhsa_float_denorm_mode_16_64 3
		.amdhsa_fp16_overflow 0
		.amdhsa_memory_ordered 1
		.amdhsa_forward_progress 1
		.amdhsa_inst_pref_size 7
		.amdhsa_round_robin_scheduling 0
		.amdhsa_exception_fp_ieee_invalid_op 0
		.amdhsa_exception_fp_denorm_src 0
		.amdhsa_exception_fp_ieee_div_zero 0
		.amdhsa_exception_fp_ieee_overflow 0
		.amdhsa_exception_fp_ieee_underflow 0
		.amdhsa_exception_fp_ieee_inexact 0
		.amdhsa_exception_int_div_zero 0
	.end_amdhsa_kernel
	.section	.text._ZN9rocsparseL10bsr_gatherILj4ELj64ELj2EifEEv20rocsparse_direction_T2_PKS2_PKT3_PS5_S2_,"axG",@progbits,_ZN9rocsparseL10bsr_gatherILj4ELj64ELj2EifEEv20rocsparse_direction_T2_PKS2_PKT3_PS5_S2_,comdat
.Lfunc_end1:
	.size	_ZN9rocsparseL10bsr_gatherILj4ELj64ELj2EifEEv20rocsparse_direction_T2_PKS2_PKT3_PS5_S2_, .Lfunc_end1-_ZN9rocsparseL10bsr_gatherILj4ELj64ELj2EifEEv20rocsparse_direction_T2_PKS2_PKT3_PS5_S2_
                                        ; -- End function
	.set _ZN9rocsparseL10bsr_gatherILj4ELj64ELj2EifEEv20rocsparse_direction_T2_PKS2_PKT3_PS5_S2_.num_vgpr, 25
	.set _ZN9rocsparseL10bsr_gatherILj4ELj64ELj2EifEEv20rocsparse_direction_T2_PKS2_PKT3_PS5_S2_.num_agpr, 0
	.set _ZN9rocsparseL10bsr_gatherILj4ELj64ELj2EifEEv20rocsparse_direction_T2_PKS2_PKT3_PS5_S2_.numbered_sgpr, 16
	.set _ZN9rocsparseL10bsr_gatherILj4ELj64ELj2EifEEv20rocsparse_direction_T2_PKS2_PKT3_PS5_S2_.num_named_barrier, 0
	.set _ZN9rocsparseL10bsr_gatherILj4ELj64ELj2EifEEv20rocsparse_direction_T2_PKS2_PKT3_PS5_S2_.private_seg_size, 0
	.set _ZN9rocsparseL10bsr_gatherILj4ELj64ELj2EifEEv20rocsparse_direction_T2_PKS2_PKT3_PS5_S2_.uses_vcc, 1
	.set _ZN9rocsparseL10bsr_gatherILj4ELj64ELj2EifEEv20rocsparse_direction_T2_PKS2_PKT3_PS5_S2_.uses_flat_scratch, 0
	.set _ZN9rocsparseL10bsr_gatherILj4ELj64ELj2EifEEv20rocsparse_direction_T2_PKS2_PKT3_PS5_S2_.has_dyn_sized_stack, 0
	.set _ZN9rocsparseL10bsr_gatherILj4ELj64ELj2EifEEv20rocsparse_direction_T2_PKS2_PKT3_PS5_S2_.has_recursion, 0
	.set _ZN9rocsparseL10bsr_gatherILj4ELj64ELj2EifEEv20rocsparse_direction_T2_PKS2_PKT3_PS5_S2_.has_indirect_call, 0
	.section	.AMDGPU.csdata,"",@progbits
; Kernel info:
; codeLenInByte = 888
; TotalNumSgprs: 18
; NumVgprs: 25
; ScratchSize: 0
; MemoryBound: 0
; FloatMode: 240
; IeeeMode: 1
; LDSByteSize: 0 bytes/workgroup (compile time only)
; SGPRBlocks: 0
; VGPRBlocks: 1
; NumSGPRsForWavesPerEU: 18
; NumVGPRsForWavesPerEU: 25
; NamedBarCnt: 0
; Occupancy: 16
; WaveLimiterHint : 0
; COMPUTE_PGM_RSRC2:SCRATCH_EN: 0
; COMPUTE_PGM_RSRC2:USER_SGPR: 2
; COMPUTE_PGM_RSRC2:TRAP_HANDLER: 0
; COMPUTE_PGM_RSRC2:TGID_X_EN: 1
; COMPUTE_PGM_RSRC2:TGID_Y_EN: 0
; COMPUTE_PGM_RSRC2:TGID_Z_EN: 0
; COMPUTE_PGM_RSRC2:TIDIG_COMP_CNT: 1
	.section	.text._ZN9rocsparseL10bsr_gatherILj16ELj16ELj4EifEEv20rocsparse_direction_T2_PKS2_PKT3_PS5_S2_,"axG",@progbits,_ZN9rocsparseL10bsr_gatherILj16ELj16ELj4EifEEv20rocsparse_direction_T2_PKS2_PKT3_PS5_S2_,comdat
	.globl	_ZN9rocsparseL10bsr_gatherILj16ELj16ELj4EifEEv20rocsparse_direction_T2_PKS2_PKT3_PS5_S2_ ; -- Begin function _ZN9rocsparseL10bsr_gatherILj16ELj16ELj4EifEEv20rocsparse_direction_T2_PKS2_PKT3_PS5_S2_
	.p2align	8
	.type	_ZN9rocsparseL10bsr_gatherILj16ELj16ELj4EifEEv20rocsparse_direction_T2_PKS2_PKT3_PS5_S2_,@function
_ZN9rocsparseL10bsr_gatherILj16ELj16ELj4EifEEv20rocsparse_direction_T2_PKS2_PKT3_PS5_S2_: ; @_ZN9rocsparseL10bsr_gatherILj16ELj16ELj4EifEEv20rocsparse_direction_T2_PKS2_PKT3_PS5_S2_
; %bb.0:
	s_load_b64 s[2:3], s[0:1], 0x0
	s_bfe_u32 s4, ttmp6, 0x4000c
	s_and_b32 s5, ttmp6, 15
	s_add_co_i32 s4, s4, 1
	v_bfe_u32 v1, v0, 10, 10
	s_mul_i32 s4, ttmp9, s4
	s_delay_alu instid0(SALU_CYCLE_1) | instskip(SKIP_1) | instid1(SALU_CYCLE_1)
	s_add_co_i32 s5, s5, s4
	s_getreg_b32 s4, hwreg(HW_REG_IB_STS2, 6, 4)
	s_cmp_eq_u32 s4, 0
	s_cselect_b32 s4, ttmp9, s5
	s_delay_alu instid0(SALU_CYCLE_1) | instskip(SKIP_1) | instid1(VALU_DEP_1)
	v_lshl_add_u32 v1, s4, 4, v1
	s_wait_kmcnt 0x0
	v_cmp_gt_i32_e32 vcc_lo, s3, v1
	s_and_saveexec_b32 s3, vcc_lo
	s_cbranch_execz .LBB2_20
; %bb.1:
	s_load_b32 s10, s[0:1], 0x20
	v_and_b32_e32 v2, 3, v0
	s_wait_kmcnt 0x0
	s_delay_alu instid0(VALU_DEP_1)
	v_cmp_gt_i32_e32 vcc_lo, s10, v2
	s_and_b32 exec_lo, exec_lo, vcc_lo
	s_cbranch_execz .LBB2_20
; %bb.2:
	s_clause 0x1
	s_load_b128 s[4:7], s[0:1], 0x8
	s_load_b64 s[8:9], s[0:1], 0x18
	v_and_b32_e32 v0, 0x3ff, v0
	v_mul_lo_u32 v4, s10, v1
	s_cmp_lg_u32 s2, 0
	s_mov_b32 s11, s10
	s_delay_alu instid0(VALU_DEP_2) | instskip(NEXT) | instid1(VALU_DEP_1)
	v_lshrrev_b32_e32 v0, 2, v0
	v_xad_u32 v5, v0, -1, s10
	s_wait_xcnt 0x0
	s_delay_alu instid0(VALU_DEP_1)
	v_cmp_lt_u32_e64 s1, 3, v5
	s_wait_kmcnt 0x0
	global_load_b32 v3, v1, s[4:5] scale_offset
	s_wait_xcnt 0x0
	v_lshrrev_b32_e32 v1, 2, v5
	v_cmp_gt_u32_e64 s0, s10, v0
	s_cselect_b32 s5, -1, 0
	s_cmp_eq_u32 s2, 0
	s_mov_b32 s4, 0
	v_dual_add_nc_u32 v7, 1, v1 :: v_dual_add_nc_u32 v1, v4, v2
	s_cselect_b32 s3, -1, 0
	s_lshl_b32 s12, s10, 2
	v_mov_b32_e32 v5, v4
	s_delay_alu instid0(VALU_DEP_2) | instskip(SKIP_2) | instid1(VALU_DEP_3)
	v_and_b32_e32 v14, 0x7ffffffe, v7
	v_mul_lo_u32 v15, s10, v1
	v_add_nc_u32_e32 v1, 4, v0
	v_lshl_add_u32 v17, v14, 2, v0
	v_cmp_ne_u32_e64 s2, v7, v14
	s_wait_loadcnt 0x0
	v_mul_lo_u32 v6, v3, s10
	s_delay_alu instid0(VALU_DEP_1) | instskip(NEXT) | instid1(VALU_DEP_1)
	v_add_nc_u32_e32 v3, v6, v2
	v_mul_lo_u32 v16, s10, v3
	v_mov_b32_e32 v3, v6
	s_branch .LBB2_4
.LBB2_3:                                ;   in Loop: Header=BB2_4 Depth=1
	s_or_b32 exec_lo, exec_lo, s13
	v_dual_add_nc_u32 v2, 4, v2 :: v_dual_add_nc_u32 v15, s12, v15
	s_delay_alu instid0(VALU_DEP_3) | instskip(NEXT) | instid1(VALU_DEP_2)
	v_add_nc_u32_e32 v16, s12, v16
	v_cmp_le_i32_e32 vcc_lo, s10, v2
	s_or_b32 s4, vcc_lo, s4
	s_delay_alu instid0(SALU_CYCLE_1)
	s_and_not1_b32 exec_lo, exec_lo, s4
	s_cbranch_execz .LBB2_20
.LBB2_4:                                ; =>This Loop Header: Depth=1
                                        ;     Child Loop BB2_7 Depth 2
                                        ;     Child Loop BB2_12 Depth 2
	s_and_saveexec_b32 s13, s0
	s_cbranch_execz .LBB2_3
; %bb.5:                                ;   in Loop: Header=BB2_4 Depth=1
	v_mov_b32_e32 v7, v0
	s_mov_b32 s15, -1
	s_and_saveexec_b32 s14, s1
	s_cbranch_execz .LBB2_9
; %bb.6:                                ;   in Loop: Header=BB2_4 Depth=1
	v_dual_add_nc_u32 v7, v2, v6 :: v_dual_add_nc_u32 v9, v2, v4
	v_mov_b64_e32 v[12:13], v[0:1]
	s_mov_b32 s15, 0
	v_mov_b32_e32 v18, v14
	s_delay_alu instid0(VALU_DEP_3) | instskip(SKIP_1) | instid1(VALU_DEP_2)
	v_mul_lo_u32 v8, v7, s10
	v_mul_lo_u32 v10, v9, s10
	v_dual_mov_b32 v7, v2 :: v_dual_mov_b32 v9, v8
	s_delay_alu instid0(VALU_DEP_2)
	v_mov_b32_e32 v11, v10
.LBB2_7:                                ;   Parent Loop BB2_4 Depth=1
                                        ; =>  This Inner Loop Header: Depth=2
	v_dual_add_nc_u32 v19, v12, v6 :: v_dual_add_nc_u32 v20, v13, v3
	s_delay_alu instid0(VALU_DEP_3) | instskip(NEXT) | instid1(VALU_DEP_3)
	v_dual_add_nc_u32 v21, v12, v8 :: v_dual_add_nc_u32 v22, v13, v9
	v_dual_add_nc_u32 v18, -2, v18 :: v_dual_add_nc_u32 v24, v13, v11
	s_delay_alu instid0(VALU_DEP_3) | instskip(NEXT) | instid1(VALU_DEP_4)
	v_mad_u32 v19, v19, s10, v2
	v_mad_u32 v20, v20, s11, v7
	v_add_nc_u32_e32 v23, v12, v10
	s_delay_alu instid0(VALU_DEP_4) | instskip(SKIP_1) | instid1(VALU_DEP_3)
	v_cmp_eq_u32_e32 vcc_lo, 0, v18
	s_or_b32 s15, vcc_lo, s15
	v_dual_cndmask_b32 v19, v21, v19, s3 :: v_dual_cndmask_b32 v20, v22, v20, s3
	s_clause 0x1
	global_load_b32 v21, v19, s[6:7] scale_offset
	global_load_b32 v22, v20, s[6:7] scale_offset
	s_wait_xcnt 0x0
	v_dual_add_nc_u32 v19, v12, v4 :: v_dual_add_nc_u32 v20, v13, v5
	v_dual_add_nc_u32 v13, 8, v13 :: v_dual_add_nc_u32 v12, 8, v12
	s_delay_alu instid0(VALU_DEP_2) | instskip(NEXT) | instid1(VALU_DEP_3)
	v_mad_u32 v19, v19, s10, v2
	v_mad_u32 v20, v20, s11, v7
	s_delay_alu instid0(VALU_DEP_1)
	v_dual_cndmask_b32 v19, v19, v23, s3 :: v_dual_cndmask_b32 v20, v20, v24, s3
	s_wait_loadcnt 0x1
	global_store_b32 v19, v21, s[8:9] scale_offset
	s_wait_loadcnt 0x0
	global_store_b32 v20, v22, s[8:9] scale_offset
	s_wait_xcnt 0x0
	s_and_not1_b32 exec_lo, exec_lo, s15
	s_cbranch_execnz .LBB2_7
; %bb.8:                                ;   in Loop: Header=BB2_4 Depth=1
	s_or_b32 exec_lo, exec_lo, s15
	v_mov_b32_e32 v7, v17
	s_or_not1_b32 s15, s2, exec_lo
.LBB2_9:                                ;   in Loop: Header=BB2_4 Depth=1
	s_or_b32 exec_lo, exec_lo, s14
	s_delay_alu instid0(SALU_CYCLE_1)
	s_and_b32 exec_lo, exec_lo, s15
	s_cbranch_execz .LBB2_3
; %bb.10:                               ;   in Loop: Header=BB2_4 Depth=1
	s_mov_b32 s14, 0
	s_branch .LBB2_12
.LBB2_11:                               ;   in Loop: Header=BB2_12 Depth=2
	v_add_nc_u32_e32 v7, 4, v7
	s_wait_loadcnt 0x0
	global_store_b32 v9, v8, s[8:9] scale_offset
	v_cmp_le_i32_e32 vcc_lo, s10, v7
	s_or_b32 s14, vcc_lo, s14
	s_wait_xcnt 0x0
	s_and_not1_b32 exec_lo, exec_lo, s14
	s_cbranch_execz .LBB2_3
.LBB2_12:                               ;   Parent Loop BB2_4 Depth=1
                                        ; =>  This Inner Loop Header: Depth=2
	s_and_b32 vcc_lo, exec_lo, s5
	s_mov_b32 s15, -1
                                        ; implicit-def: $vgpr8
	s_cbranch_vccz .LBB2_14
; %bb.13:                               ;   in Loop: Header=BB2_12 Depth=2
	v_add_nc_u32_e32 v8, v16, v7
	s_cbranch_execnz .LBB2_16
	s_branch .LBB2_15
.LBB2_14:                               ;   in Loop: Header=BB2_12 Depth=2
	s_and_not1_b32 vcc_lo, exec_lo, s15
	s_cbranch_vccnz .LBB2_16
.LBB2_15:                               ;   in Loop: Header=BB2_12 Depth=2
	v_add_nc_u32_e32 v8, v7, v6
	s_delay_alu instid0(VALU_DEP_1)
	v_mad_u32 v8, v8, s10, v2
.LBB2_16:                               ;   in Loop: Header=BB2_12 Depth=2
	global_load_b32 v8, v8, s[6:7] scale_offset
	s_and_b32 vcc_lo, exec_lo, s5
	s_mov_b32 s15, -1
                                        ; implicit-def: $vgpr9
	s_cbranch_vccz .LBB2_18
; %bb.17:                               ;   in Loop: Header=BB2_12 Depth=2
	v_add_nc_u32_e32 v9, v7, v4
	s_delay_alu instid0(VALU_DEP_1)
	v_mad_u32 v9, v9, s10, v2
	s_cbranch_execnz .LBB2_11
	s_branch .LBB2_19
.LBB2_18:                               ;   in Loop: Header=BB2_12 Depth=2
	s_and_not1_b32 vcc_lo, exec_lo, s15
	s_cbranch_vccnz .LBB2_11
.LBB2_19:                               ;   in Loop: Header=BB2_12 Depth=2
	v_add_nc_u32_e32 v9, v15, v7
	s_branch .LBB2_11
.LBB2_20:
	s_endpgm
	.section	.rodata,"a",@progbits
	.p2align	6, 0x0
	.amdhsa_kernel _ZN9rocsparseL10bsr_gatherILj16ELj16ELj4EifEEv20rocsparse_direction_T2_PKS2_PKT3_PS5_S2_
		.amdhsa_group_segment_fixed_size 0
		.amdhsa_private_segment_fixed_size 0
		.amdhsa_kernarg_size 36
		.amdhsa_user_sgpr_count 2
		.amdhsa_user_sgpr_dispatch_ptr 0
		.amdhsa_user_sgpr_queue_ptr 0
		.amdhsa_user_sgpr_kernarg_segment_ptr 1
		.amdhsa_user_sgpr_dispatch_id 0
		.amdhsa_user_sgpr_kernarg_preload_length 0
		.amdhsa_user_sgpr_kernarg_preload_offset 0
		.amdhsa_user_sgpr_private_segment_size 0
		.amdhsa_wavefront_size32 1
		.amdhsa_uses_dynamic_stack 0
		.amdhsa_enable_private_segment 0
		.amdhsa_system_sgpr_workgroup_id_x 1
		.amdhsa_system_sgpr_workgroup_id_y 0
		.amdhsa_system_sgpr_workgroup_id_z 0
		.amdhsa_system_sgpr_workgroup_info 0
		.amdhsa_system_vgpr_workitem_id 1
		.amdhsa_next_free_vgpr 25
		.amdhsa_next_free_sgpr 16
		.amdhsa_named_barrier_count 0
		.amdhsa_reserve_vcc 1
		.amdhsa_float_round_mode_32 0
		.amdhsa_float_round_mode_16_64 0
		.amdhsa_float_denorm_mode_32 3
		.amdhsa_float_denorm_mode_16_64 3
		.amdhsa_fp16_overflow 0
		.amdhsa_memory_ordered 1
		.amdhsa_forward_progress 1
		.amdhsa_inst_pref_size 7
		.amdhsa_round_robin_scheduling 0
		.amdhsa_exception_fp_ieee_invalid_op 0
		.amdhsa_exception_fp_denorm_src 0
		.amdhsa_exception_fp_ieee_div_zero 0
		.amdhsa_exception_fp_ieee_overflow 0
		.amdhsa_exception_fp_ieee_underflow 0
		.amdhsa_exception_fp_ieee_inexact 0
		.amdhsa_exception_int_div_zero 0
	.end_amdhsa_kernel
	.section	.text._ZN9rocsparseL10bsr_gatherILj16ELj16ELj4EifEEv20rocsparse_direction_T2_PKS2_PKT3_PS5_S2_,"axG",@progbits,_ZN9rocsparseL10bsr_gatherILj16ELj16ELj4EifEEv20rocsparse_direction_T2_PKS2_PKT3_PS5_S2_,comdat
.Lfunc_end2:
	.size	_ZN9rocsparseL10bsr_gatherILj16ELj16ELj4EifEEv20rocsparse_direction_T2_PKS2_PKT3_PS5_S2_, .Lfunc_end2-_ZN9rocsparseL10bsr_gatherILj16ELj16ELj4EifEEv20rocsparse_direction_T2_PKS2_PKT3_PS5_S2_
                                        ; -- End function
	.set _ZN9rocsparseL10bsr_gatherILj16ELj16ELj4EifEEv20rocsparse_direction_T2_PKS2_PKT3_PS5_S2_.num_vgpr, 25
	.set _ZN9rocsparseL10bsr_gatherILj16ELj16ELj4EifEEv20rocsparse_direction_T2_PKS2_PKT3_PS5_S2_.num_agpr, 0
	.set _ZN9rocsparseL10bsr_gatherILj16ELj16ELj4EifEEv20rocsparse_direction_T2_PKS2_PKT3_PS5_S2_.numbered_sgpr, 16
	.set _ZN9rocsparseL10bsr_gatherILj16ELj16ELj4EifEEv20rocsparse_direction_T2_PKS2_PKT3_PS5_S2_.num_named_barrier, 0
	.set _ZN9rocsparseL10bsr_gatherILj16ELj16ELj4EifEEv20rocsparse_direction_T2_PKS2_PKT3_PS5_S2_.private_seg_size, 0
	.set _ZN9rocsparseL10bsr_gatherILj16ELj16ELj4EifEEv20rocsparse_direction_T2_PKS2_PKT3_PS5_S2_.uses_vcc, 1
	.set _ZN9rocsparseL10bsr_gatherILj16ELj16ELj4EifEEv20rocsparse_direction_T2_PKS2_PKT3_PS5_S2_.uses_flat_scratch, 0
	.set _ZN9rocsparseL10bsr_gatherILj16ELj16ELj4EifEEv20rocsparse_direction_T2_PKS2_PKT3_PS5_S2_.has_dyn_sized_stack, 0
	.set _ZN9rocsparseL10bsr_gatherILj16ELj16ELj4EifEEv20rocsparse_direction_T2_PKS2_PKT3_PS5_S2_.has_recursion, 0
	.set _ZN9rocsparseL10bsr_gatherILj16ELj16ELj4EifEEv20rocsparse_direction_T2_PKS2_PKT3_PS5_S2_.has_indirect_call, 0
	.section	.AMDGPU.csdata,"",@progbits
; Kernel info:
; codeLenInByte = 884
; TotalNumSgprs: 18
; NumVgprs: 25
; ScratchSize: 0
; MemoryBound: 0
; FloatMode: 240
; IeeeMode: 1
; LDSByteSize: 0 bytes/workgroup (compile time only)
; SGPRBlocks: 0
; VGPRBlocks: 1
; NumSGPRsForWavesPerEU: 18
; NumVGPRsForWavesPerEU: 25
; NamedBarCnt: 0
; Occupancy: 16
; WaveLimiterHint : 0
; COMPUTE_PGM_RSRC2:SCRATCH_EN: 0
; COMPUTE_PGM_RSRC2:USER_SGPR: 2
; COMPUTE_PGM_RSRC2:TRAP_HANDLER: 0
; COMPUTE_PGM_RSRC2:TGID_X_EN: 1
; COMPUTE_PGM_RSRC2:TGID_Y_EN: 0
; COMPUTE_PGM_RSRC2:TGID_Z_EN: 0
; COMPUTE_PGM_RSRC2:TIDIG_COMP_CNT: 1
	.section	.text._ZN9rocsparseL10bsr_gatherILj64ELj4ELj8EifEEv20rocsparse_direction_T2_PKS2_PKT3_PS5_S2_,"axG",@progbits,_ZN9rocsparseL10bsr_gatherILj64ELj4ELj8EifEEv20rocsparse_direction_T2_PKS2_PKT3_PS5_S2_,comdat
	.globl	_ZN9rocsparseL10bsr_gatherILj64ELj4ELj8EifEEv20rocsparse_direction_T2_PKS2_PKT3_PS5_S2_ ; -- Begin function _ZN9rocsparseL10bsr_gatherILj64ELj4ELj8EifEEv20rocsparse_direction_T2_PKS2_PKT3_PS5_S2_
	.p2align	8
	.type	_ZN9rocsparseL10bsr_gatherILj64ELj4ELj8EifEEv20rocsparse_direction_T2_PKS2_PKT3_PS5_S2_,@function
_ZN9rocsparseL10bsr_gatherILj64ELj4ELj8EifEEv20rocsparse_direction_T2_PKS2_PKT3_PS5_S2_: ; @_ZN9rocsparseL10bsr_gatherILj64ELj4ELj8EifEEv20rocsparse_direction_T2_PKS2_PKT3_PS5_S2_
; %bb.0:
	s_load_b64 s[2:3], s[0:1], 0x0
	s_bfe_u32 s4, ttmp6, 0x4000c
	s_and_b32 s5, ttmp6, 15
	s_add_co_i32 s4, s4, 1
	v_bfe_u32 v1, v0, 10, 10
	s_mul_i32 s4, ttmp9, s4
	s_delay_alu instid0(SALU_CYCLE_1) | instskip(SKIP_1) | instid1(SALU_CYCLE_1)
	s_add_co_i32 s5, s5, s4
	s_getreg_b32 s4, hwreg(HW_REG_IB_STS2, 6, 4)
	s_cmp_eq_u32 s4, 0
	s_cselect_b32 s4, ttmp9, s5
	s_delay_alu instid0(SALU_CYCLE_1) | instskip(SKIP_1) | instid1(VALU_DEP_1)
	v_lshl_add_u32 v1, s4, 2, v1
	s_wait_kmcnt 0x0
	v_cmp_gt_i32_e32 vcc_lo, s3, v1
	s_and_saveexec_b32 s3, vcc_lo
	s_cbranch_execz .LBB3_20
; %bb.1:
	s_load_b32 s10, s[0:1], 0x20
	v_and_b32_e32 v2, 7, v0
	s_wait_kmcnt 0x0
	s_delay_alu instid0(VALU_DEP_1)
	v_cmp_gt_i32_e32 vcc_lo, s10, v2
	s_and_b32 exec_lo, exec_lo, vcc_lo
	s_cbranch_execz .LBB3_20
; %bb.2:
	s_clause 0x1
	s_load_b128 s[4:7], s[0:1], 0x8
	s_load_b64 s[8:9], s[0:1], 0x18
	v_and_b32_e32 v0, 0x3ff, v0
	v_mul_lo_u32 v4, s10, v1
	s_cmp_lg_u32 s2, 0
	s_mov_b32 s11, s10
	s_delay_alu instid0(VALU_DEP_2) | instskip(NEXT) | instid1(VALU_DEP_1)
	v_lshrrev_b32_e32 v0, 3, v0
	v_xad_u32 v5, v0, -1, s10
	s_wait_xcnt 0x0
	s_delay_alu instid0(VALU_DEP_1)
	v_cmp_lt_u32_e64 s1, 7, v5
	s_wait_kmcnt 0x0
	global_load_b32 v3, v1, s[4:5] scale_offset
	s_wait_xcnt 0x0
	v_lshrrev_b32_e32 v1, 3, v5
	v_cmp_gt_u32_e64 s0, s10, v0
	s_cselect_b32 s5, -1, 0
	s_cmp_eq_u32 s2, 0
	s_mov_b32 s4, 0
	v_dual_add_nc_u32 v7, 1, v1 :: v_dual_add_nc_u32 v1, v4, v2
	s_cselect_b32 s3, -1, 0
	s_lshl_b32 s12, s10, 3
	v_mov_b32_e32 v5, v4
	s_delay_alu instid0(VALU_DEP_2) | instskip(SKIP_2) | instid1(VALU_DEP_3)
	v_and_b32_e32 v14, 0x3ffffffe, v7
	v_mul_lo_u32 v15, s10, v1
	v_add_nc_u32_e32 v1, 8, v0
	v_lshl_add_u32 v17, v14, 3, v0
	v_cmp_ne_u32_e64 s2, v7, v14
	s_wait_loadcnt 0x0
	v_mul_lo_u32 v6, v3, s10
	s_delay_alu instid0(VALU_DEP_1) | instskip(NEXT) | instid1(VALU_DEP_1)
	v_add_nc_u32_e32 v3, v6, v2
	v_mul_lo_u32 v16, s10, v3
	v_mov_b32_e32 v3, v6
	s_branch .LBB3_4
.LBB3_3:                                ;   in Loop: Header=BB3_4 Depth=1
	s_or_b32 exec_lo, exec_lo, s13
	v_dual_add_nc_u32 v2, 8, v2 :: v_dual_add_nc_u32 v15, s12, v15
	s_delay_alu instid0(VALU_DEP_3) | instskip(NEXT) | instid1(VALU_DEP_2)
	v_add_nc_u32_e32 v16, s12, v16
	v_cmp_le_i32_e32 vcc_lo, s10, v2
	s_or_b32 s4, vcc_lo, s4
	s_delay_alu instid0(SALU_CYCLE_1)
	s_and_not1_b32 exec_lo, exec_lo, s4
	s_cbranch_execz .LBB3_20
.LBB3_4:                                ; =>This Loop Header: Depth=1
                                        ;     Child Loop BB3_7 Depth 2
                                        ;     Child Loop BB3_12 Depth 2
	s_and_saveexec_b32 s13, s0
	s_cbranch_execz .LBB3_3
; %bb.5:                                ;   in Loop: Header=BB3_4 Depth=1
	v_mov_b32_e32 v7, v0
	s_mov_b32 s15, -1
	s_and_saveexec_b32 s14, s1
	s_cbranch_execz .LBB3_9
; %bb.6:                                ;   in Loop: Header=BB3_4 Depth=1
	v_dual_add_nc_u32 v7, v2, v6 :: v_dual_add_nc_u32 v9, v2, v4
	v_mov_b64_e32 v[12:13], v[0:1]
	s_mov_b32 s15, 0
	v_mov_b32_e32 v18, v14
	s_delay_alu instid0(VALU_DEP_3) | instskip(SKIP_1) | instid1(VALU_DEP_2)
	v_mul_lo_u32 v8, v7, s10
	v_mul_lo_u32 v10, v9, s10
	v_dual_mov_b32 v7, v2 :: v_dual_mov_b32 v9, v8
	s_delay_alu instid0(VALU_DEP_2)
	v_mov_b32_e32 v11, v10
.LBB3_7:                                ;   Parent Loop BB3_4 Depth=1
                                        ; =>  This Inner Loop Header: Depth=2
	v_dual_add_nc_u32 v19, v12, v6 :: v_dual_add_nc_u32 v20, v13, v3
	s_delay_alu instid0(VALU_DEP_3) | instskip(NEXT) | instid1(VALU_DEP_3)
	v_dual_add_nc_u32 v21, v12, v8 :: v_dual_add_nc_u32 v22, v13, v9
	v_dual_add_nc_u32 v18, -2, v18 :: v_dual_add_nc_u32 v24, v13, v11
	s_delay_alu instid0(VALU_DEP_3) | instskip(NEXT) | instid1(VALU_DEP_4)
	v_mad_u32 v19, v19, s10, v2
	v_mad_u32 v20, v20, s11, v7
	v_add_nc_u32_e32 v23, v12, v10
	s_delay_alu instid0(VALU_DEP_4) | instskip(SKIP_1) | instid1(VALU_DEP_3)
	v_cmp_eq_u32_e32 vcc_lo, 0, v18
	s_or_b32 s15, vcc_lo, s15
	v_dual_cndmask_b32 v19, v21, v19, s3 :: v_dual_cndmask_b32 v20, v22, v20, s3
	s_clause 0x1
	global_load_b32 v21, v19, s[6:7] scale_offset
	global_load_b32 v22, v20, s[6:7] scale_offset
	s_wait_xcnt 0x0
	v_dual_add_nc_u32 v19, v12, v4 :: v_dual_add_nc_u32 v20, v13, v5
	v_dual_add_nc_u32 v13, 16, v13 :: v_dual_add_nc_u32 v12, 16, v12
	s_delay_alu instid0(VALU_DEP_2) | instskip(NEXT) | instid1(VALU_DEP_3)
	v_mad_u32 v19, v19, s10, v2
	v_mad_u32 v20, v20, s11, v7
	s_delay_alu instid0(VALU_DEP_1)
	v_dual_cndmask_b32 v19, v19, v23, s3 :: v_dual_cndmask_b32 v20, v20, v24, s3
	s_wait_loadcnt 0x1
	global_store_b32 v19, v21, s[8:9] scale_offset
	s_wait_loadcnt 0x0
	global_store_b32 v20, v22, s[8:9] scale_offset
	s_wait_xcnt 0x0
	s_and_not1_b32 exec_lo, exec_lo, s15
	s_cbranch_execnz .LBB3_7
; %bb.8:                                ;   in Loop: Header=BB3_4 Depth=1
	s_or_b32 exec_lo, exec_lo, s15
	v_mov_b32_e32 v7, v17
	s_or_not1_b32 s15, s2, exec_lo
.LBB3_9:                                ;   in Loop: Header=BB3_4 Depth=1
	s_or_b32 exec_lo, exec_lo, s14
	s_delay_alu instid0(SALU_CYCLE_1)
	s_and_b32 exec_lo, exec_lo, s15
	s_cbranch_execz .LBB3_3
; %bb.10:                               ;   in Loop: Header=BB3_4 Depth=1
	s_mov_b32 s14, 0
	s_branch .LBB3_12
.LBB3_11:                               ;   in Loop: Header=BB3_12 Depth=2
	v_add_nc_u32_e32 v7, 8, v7
	s_wait_loadcnt 0x0
	global_store_b32 v9, v8, s[8:9] scale_offset
	v_cmp_le_i32_e32 vcc_lo, s10, v7
	s_or_b32 s14, vcc_lo, s14
	s_wait_xcnt 0x0
	s_and_not1_b32 exec_lo, exec_lo, s14
	s_cbranch_execz .LBB3_3
.LBB3_12:                               ;   Parent Loop BB3_4 Depth=1
                                        ; =>  This Inner Loop Header: Depth=2
	s_and_b32 vcc_lo, exec_lo, s5
	s_mov_b32 s15, -1
                                        ; implicit-def: $vgpr8
	s_cbranch_vccz .LBB3_14
; %bb.13:                               ;   in Loop: Header=BB3_12 Depth=2
	v_add_nc_u32_e32 v8, v16, v7
	s_cbranch_execnz .LBB3_16
	s_branch .LBB3_15
.LBB3_14:                               ;   in Loop: Header=BB3_12 Depth=2
	s_and_not1_b32 vcc_lo, exec_lo, s15
	s_cbranch_vccnz .LBB3_16
.LBB3_15:                               ;   in Loop: Header=BB3_12 Depth=2
	v_add_nc_u32_e32 v8, v7, v6
	s_delay_alu instid0(VALU_DEP_1)
	v_mad_u32 v8, v8, s10, v2
.LBB3_16:                               ;   in Loop: Header=BB3_12 Depth=2
	global_load_b32 v8, v8, s[6:7] scale_offset
	s_and_b32 vcc_lo, exec_lo, s5
	s_mov_b32 s15, -1
                                        ; implicit-def: $vgpr9
	s_cbranch_vccz .LBB3_18
; %bb.17:                               ;   in Loop: Header=BB3_12 Depth=2
	v_add_nc_u32_e32 v9, v7, v4
	s_delay_alu instid0(VALU_DEP_1)
	v_mad_u32 v9, v9, s10, v2
	s_cbranch_execnz .LBB3_11
	s_branch .LBB3_19
.LBB3_18:                               ;   in Loop: Header=BB3_12 Depth=2
	s_and_not1_b32 vcc_lo, exec_lo, s15
	s_cbranch_vccnz .LBB3_11
.LBB3_19:                               ;   in Loop: Header=BB3_12 Depth=2
	v_add_nc_u32_e32 v9, v15, v7
	s_branch .LBB3_11
.LBB3_20:
	s_endpgm
	.section	.rodata,"a",@progbits
	.p2align	6, 0x0
	.amdhsa_kernel _ZN9rocsparseL10bsr_gatherILj64ELj4ELj8EifEEv20rocsparse_direction_T2_PKS2_PKT3_PS5_S2_
		.amdhsa_group_segment_fixed_size 0
		.amdhsa_private_segment_fixed_size 0
		.amdhsa_kernarg_size 36
		.amdhsa_user_sgpr_count 2
		.amdhsa_user_sgpr_dispatch_ptr 0
		.amdhsa_user_sgpr_queue_ptr 0
		.amdhsa_user_sgpr_kernarg_segment_ptr 1
		.amdhsa_user_sgpr_dispatch_id 0
		.amdhsa_user_sgpr_kernarg_preload_length 0
		.amdhsa_user_sgpr_kernarg_preload_offset 0
		.amdhsa_user_sgpr_private_segment_size 0
		.amdhsa_wavefront_size32 1
		.amdhsa_uses_dynamic_stack 0
		.amdhsa_enable_private_segment 0
		.amdhsa_system_sgpr_workgroup_id_x 1
		.amdhsa_system_sgpr_workgroup_id_y 0
		.amdhsa_system_sgpr_workgroup_id_z 0
		.amdhsa_system_sgpr_workgroup_info 0
		.amdhsa_system_vgpr_workitem_id 1
		.amdhsa_next_free_vgpr 25
		.amdhsa_next_free_sgpr 16
		.amdhsa_named_barrier_count 0
		.amdhsa_reserve_vcc 1
		.amdhsa_float_round_mode_32 0
		.amdhsa_float_round_mode_16_64 0
		.amdhsa_float_denorm_mode_32 3
		.amdhsa_float_denorm_mode_16_64 3
		.amdhsa_fp16_overflow 0
		.amdhsa_memory_ordered 1
		.amdhsa_forward_progress 1
		.amdhsa_inst_pref_size 7
		.amdhsa_round_robin_scheduling 0
		.amdhsa_exception_fp_ieee_invalid_op 0
		.amdhsa_exception_fp_denorm_src 0
		.amdhsa_exception_fp_ieee_div_zero 0
		.amdhsa_exception_fp_ieee_overflow 0
		.amdhsa_exception_fp_ieee_underflow 0
		.amdhsa_exception_fp_ieee_inexact 0
		.amdhsa_exception_int_div_zero 0
	.end_amdhsa_kernel
	.section	.text._ZN9rocsparseL10bsr_gatherILj64ELj4ELj8EifEEv20rocsparse_direction_T2_PKS2_PKT3_PS5_S2_,"axG",@progbits,_ZN9rocsparseL10bsr_gatherILj64ELj4ELj8EifEEv20rocsparse_direction_T2_PKS2_PKT3_PS5_S2_,comdat
.Lfunc_end3:
	.size	_ZN9rocsparseL10bsr_gatherILj64ELj4ELj8EifEEv20rocsparse_direction_T2_PKS2_PKT3_PS5_S2_, .Lfunc_end3-_ZN9rocsparseL10bsr_gatherILj64ELj4ELj8EifEEv20rocsparse_direction_T2_PKS2_PKT3_PS5_S2_
                                        ; -- End function
	.set _ZN9rocsparseL10bsr_gatherILj64ELj4ELj8EifEEv20rocsparse_direction_T2_PKS2_PKT3_PS5_S2_.num_vgpr, 25
	.set _ZN9rocsparseL10bsr_gatherILj64ELj4ELj8EifEEv20rocsparse_direction_T2_PKS2_PKT3_PS5_S2_.num_agpr, 0
	.set _ZN9rocsparseL10bsr_gatherILj64ELj4ELj8EifEEv20rocsparse_direction_T2_PKS2_PKT3_PS5_S2_.numbered_sgpr, 16
	.set _ZN9rocsparseL10bsr_gatherILj64ELj4ELj8EifEEv20rocsparse_direction_T2_PKS2_PKT3_PS5_S2_.num_named_barrier, 0
	.set _ZN9rocsparseL10bsr_gatherILj64ELj4ELj8EifEEv20rocsparse_direction_T2_PKS2_PKT3_PS5_S2_.private_seg_size, 0
	.set _ZN9rocsparseL10bsr_gatherILj64ELj4ELj8EifEEv20rocsparse_direction_T2_PKS2_PKT3_PS5_S2_.uses_vcc, 1
	.set _ZN9rocsparseL10bsr_gatherILj64ELj4ELj8EifEEv20rocsparse_direction_T2_PKS2_PKT3_PS5_S2_.uses_flat_scratch, 0
	.set _ZN9rocsparseL10bsr_gatherILj64ELj4ELj8EifEEv20rocsparse_direction_T2_PKS2_PKT3_PS5_S2_.has_dyn_sized_stack, 0
	.set _ZN9rocsparseL10bsr_gatherILj64ELj4ELj8EifEEv20rocsparse_direction_T2_PKS2_PKT3_PS5_S2_.has_recursion, 0
	.set _ZN9rocsparseL10bsr_gatherILj64ELj4ELj8EifEEv20rocsparse_direction_T2_PKS2_PKT3_PS5_S2_.has_indirect_call, 0
	.section	.AMDGPU.csdata,"",@progbits
; Kernel info:
; codeLenInByte = 884
; TotalNumSgprs: 18
; NumVgprs: 25
; ScratchSize: 0
; MemoryBound: 0
; FloatMode: 240
; IeeeMode: 1
; LDSByteSize: 0 bytes/workgroup (compile time only)
; SGPRBlocks: 0
; VGPRBlocks: 1
; NumSGPRsForWavesPerEU: 18
; NumVGPRsForWavesPerEU: 25
; NamedBarCnt: 0
; Occupancy: 16
; WaveLimiterHint : 0
; COMPUTE_PGM_RSRC2:SCRATCH_EN: 0
; COMPUTE_PGM_RSRC2:USER_SGPR: 2
; COMPUTE_PGM_RSRC2:TRAP_HANDLER: 0
; COMPUTE_PGM_RSRC2:TGID_X_EN: 1
; COMPUTE_PGM_RSRC2:TGID_Y_EN: 0
; COMPUTE_PGM_RSRC2:TGID_Z_EN: 0
; COMPUTE_PGM_RSRC2:TIDIG_COMP_CNT: 1
	.section	.text._ZN9rocsparseL24bsrsm_upper_large_kernelILj256ELj16ELb1EfEEviiPKiS2_PKT2_iPS3_iPiS2_S7_21rocsparse_index_base_20rocsparse_diag_type_20rocsparse_direction_,"axG",@progbits,_ZN9rocsparseL24bsrsm_upper_large_kernelILj256ELj16ELb1EfEEviiPKiS2_PKT2_iPS3_iPiS2_S7_21rocsparse_index_base_20rocsparse_diag_type_20rocsparse_direction_,comdat
	.globl	_ZN9rocsparseL24bsrsm_upper_large_kernelILj256ELj16ELb1EfEEviiPKiS2_PKT2_iPS3_iPiS2_S7_21rocsparse_index_base_20rocsparse_diag_type_20rocsparse_direction_ ; -- Begin function _ZN9rocsparseL24bsrsm_upper_large_kernelILj256ELj16ELb1EfEEviiPKiS2_PKT2_iPS3_iPiS2_S7_21rocsparse_index_base_20rocsparse_diag_type_20rocsparse_direction_
	.p2align	8
	.type	_ZN9rocsparseL24bsrsm_upper_large_kernelILj256ELj16ELb1EfEEviiPKiS2_PKT2_iPS3_iPiS2_S7_21rocsparse_index_base_20rocsparse_diag_type_20rocsparse_direction_,@function
_ZN9rocsparseL24bsrsm_upper_large_kernelILj256ELj16ELb1EfEEviiPKiS2_PKT2_iPS3_iPiS2_S7_21rocsparse_index_base_20rocsparse_diag_type_20rocsparse_direction_: ; @_ZN9rocsparseL24bsrsm_upper_large_kernelILj256ELj16ELb1EfEEviiPKiS2_PKT2_iPS3_iPiS2_S7_21rocsparse_index_base_20rocsparse_diag_type_20rocsparse_direction_
; %bb.0:
	s_clause 0x1
	s_load_b64 s[24:25], s[0:1], 0x0
	s_load_b128 s[8:11], s[0:1], 0x8
	s_bfe_u32 s4, ttmp6, 0x4000c
	s_and_b32 s3, ttmp6, 15
	s_add_co_i32 s4, s4, 1
	s_getreg_b32 s5, hwreg(HW_REG_IB_STS2, 6, 4)
	s_mul_i32 s4, ttmp9, s4
	v_dual_lshrrev_b32 v2, 4, v0 :: v_dual_bitop2_b32 v4, 15, v0 bitop3:0x40
	s_add_co_i32 s3, s3, s4
	s_wait_kmcnt 0x0
	s_cvt_f32_u32 s2, s24
	s_sub_co_i32 s6, 0, s24
	s_delay_alu instid0(SALU_CYCLE_2) | instskip(SKIP_1) | instid1(TRANS32_DEP_1)
	v_rcp_iflag_f32_e32 v1, s2
	v_nop
	v_readfirstlane_b32 s2, v1
	s_mul_f32 s2, s2, 0x4f7ffffe
	s_delay_alu instid0(SALU_CYCLE_3) | instskip(NEXT) | instid1(SALU_CYCLE_3)
	s_cvt_u32_f32 s2, s2
	s_mul_i32 s6, s6, s2
	s_delay_alu instid0(SALU_CYCLE_1) | instskip(NEXT) | instid1(SALU_CYCLE_1)
	s_mul_hi_u32 s6, s2, s6
	s_add_co_i32 s2, s2, s6
	s_cmp_eq_u32 s5, 0
	s_load_b128 s[4:7], s[0:1], 0x38
	s_cselect_b32 s3, ttmp9, s3
	s_delay_alu instid0(SALU_CYCLE_1) | instskip(NEXT) | instid1(SALU_CYCLE_1)
	s_mul_hi_u32 s2, s3, s2
	s_mul_i32 s12, s2, s24
	s_add_co_i32 s13, s2, 1
	s_sub_co_i32 s12, s3, s12
	s_delay_alu instid0(SALU_CYCLE_1)
	s_sub_co_i32 s14, s12, s24
	s_cmp_ge_u32 s12, s24
	s_cselect_b32 s2, s13, s2
	s_cselect_b32 s12, s14, s12
	s_add_co_i32 s13, s2, 1
	s_cmp_ge_u32 s12, s24
	s_cselect_b32 s19, s13, s2
	s_delay_alu instid0(SALU_CYCLE_1) | instskip(SKIP_4) | instid1(SALU_CYCLE_1)
	s_mul_i32 s15, s19, s24
	s_lshl_b32 s19, s19, 4
	s_sub_co_i32 s2, s3, s15
	v_or_b32_e32 v1, s19, v2
	s_ashr_i32 s3, s2, 31
	s_lshl_b64 s[12:13], s[2:3], 2
	s_load_b64 s[2:3], s[0:1], 0x48
	s_wait_kmcnt 0x0
	s_add_nc_u64 s[6:7], s[6:7], s[12:13]
	s_load_b96 s[12:14], s[0:1], 0x50
	v_cmp_gt_i32_e32 vcc_lo, s25, v1
	s_load_b32 s6, s[6:7], 0x0
	s_wait_kmcnt 0x0
	s_ashr_i32 s7, s6, 31
	s_delay_alu instid0(SALU_CYCLE_1) | instskip(NEXT) | instid1(SALU_CYCLE_1)
	s_lshl_b64 s[16:17], s[6:7], 2
	s_add_nc_u64 s[8:9], s[8:9], s[16:17]
	s_load_b64 s[26:27], s[8:9], 0x0
	s_clause 0x1
	s_load_b96 s[16:18], s[0:1], 0x18
	s_load_b96 s[20:22], s[0:1], 0x28
	s_wait_xcnt 0x0
	s_not_b32 s0, s12
	s_wait_kmcnt 0x0
	s_add_co_i32 s23, s27, s0
	v_cmp_eq_u32_e64 s0, 0, v0
	s_sub_co_i32 s26, s26, s12
	s_mul_i32 s7, s6, s18
	s_cmp_lt_i32 s23, s26
	s_cbranch_scc1 .LBB4_20
; %bb.1:
	v_mad_u32 v3, s18, s23, v4
	v_cmp_gt_i32_e64 s1, s18, v4
	v_mov_b32_e32 v5, 0
	s_cmp_lg_u32 s14, 0
	s_mul_i32 s29, s22, s18
	s_cselect_b32 s27, -1, 0
	s_and_b32 s1, vcc_lo, s1
	s_mul_i32 s30, s18, s18
	s_lshl_b32 s31, s18, 4
	v_mul_lo_u32 v3, s18, v3
	s_branch .LBB4_3
.LBB4_2:                                ;   in Loop: Header=BB4_3 Depth=1
                                        ; implicit-def: $vgpr3
	s_cbranch_execnz .LBB4_21
.LBB4_3:                                ; =>This Loop Header: Depth=1
                                        ;     Child Loop BB4_18 Depth 2
                                        ;       Child Loop BB4_19 Depth 3
                                        ;     Child Loop BB4_9 Depth 2
                                        ;       Child Loop BB4_11 Depth 3
	s_wait_xcnt 0x0
	v_mov_b32_e32 v6, s23
	global_load_b32 v6, v6, s[10:11] scale_offset
	s_wait_loadcnt 0x0
	v_readfirstlane_b32 s8, v6
	s_sub_co_i32 s28, s8, s12
	s_delay_alu instid0(SALU_CYCLE_1)
	s_cmp_le_i32 s28, s6
	s_cbranch_scc1 .LBB4_2
; %bb.4:                                ;   in Loop: Header=BB4_3 Depth=1
	s_wait_xcnt 0x0
	s_and_saveexec_b32 s33, s0
	s_cbranch_execz .LBB4_6
; %bb.5:                                ;   in Loop: Header=BB4_3 Depth=1
	s_add_co_i32 s8, s28, s15
	s_delay_alu instid0(SALU_CYCLE_1)
	v_mov_b32_e32 v6, s8
	global_load_b32 v6, v6, s[4:5] scale_offset scope:SCOPE_DEV
	s_wait_loadcnt 0x0
	v_cmp_ne_u32_e32 vcc_lo, 0, v6
	s_cbranch_vccz .LBB4_16
.LBB4_6:                                ;   in Loop: Header=BB4_3 Depth=1
	s_wait_xcnt 0x0
	s_or_b32 exec_lo, exec_lo, s33
	global_wb scope:SCOPE_DEV
	s_wait_storecnt 0x0
	global_inv scope:SCOPE_DEV
	s_wait_loadcnt 0x0
	s_barrier_signal -1
	s_barrier_wait -1
	s_and_saveexec_b32 s8, s1
	s_cbranch_execz .LBB4_15
; %bb.7:                                ;   in Loop: Header=BB4_3 Depth=1
	v_mad_u32 v6, s29, s28, v1
	v_dual_mov_b32 v7, v3 :: v_dual_mov_b32 v8, v4
	s_mul_i32 s9, s23, s18
	s_mov_b32 s33, 0
	s_branch .LBB4_9
.LBB4_8:                                ;   in Loop: Header=BB4_9 Depth=2
	v_dual_add_nc_u32 v10, s7, v8 :: v_dual_add_nc_u32 v8, 16, v8
	v_add_nc_u32_e32 v7, s31, v7
	s_delay_alu instid0(VALU_DEP_2) | instskip(NEXT) | instid1(VALU_DEP_3)
	v_mad_u32 v10, v10, s22, v1
	v_cmp_le_i32_e32 vcc_lo, s18, v8
	s_or_b32 s33, vcc_lo, s33
	global_load_b32 v11, v10, s[20:21] scale_offset
	s_wait_loadcnt 0x0
	v_sub_f32_e32 v9, v11, v9
	global_store_b32 v10, v9, s[20:21] scale_offset
	s_wait_xcnt 0x0
	s_and_not1_b32 exec_lo, exec_lo, s33
	s_cbranch_execz .LBB4_15
.LBB4_9:                                ;   Parent Loop BB4_3 Depth=1
                                        ; =>  This Loop Header: Depth=2
                                        ;       Child Loop BB4_11 Depth 3
	s_delay_alu instid0(VALU_DEP_2)
	v_dual_mov_b32 v9, 0 :: v_dual_mov_b32 v10, v6
	s_mov_b32 s34, 0
	s_branch .LBB4_11
.LBB4_10:                               ;   in Loop: Header=BB4_11 Depth=3
	global_load_b32 v12, v11, s[16:17] scale_offset
	global_load_b32 v13, v10, s[20:21] scale_offset
	s_add_co_i32 s34, s34, 1
	s_wait_xcnt 0x0
	v_add_nc_u32_e32 v10, s22, v10
	s_cmp_eq_u32 s18, s34
	s_wait_loadcnt 0x0
	v_fmac_f32_e32 v9, v12, v13
	s_cbranch_scc1 .LBB4_8
.LBB4_11:                               ;   Parent Loop BB4_3 Depth=1
                                        ;     Parent Loop BB4_9 Depth=2
                                        ; =>    This Inner Loop Header: Depth=3
	s_and_b32 vcc_lo, exec_lo, s27
	s_cbranch_vccz .LBB4_13
; %bb.12:                               ;   in Loop: Header=BB4_11 Depth=3
	s_add_co_i32 s35, s34, s9
	s_delay_alu instid0(SALU_CYCLE_1)
	v_mad_u32 v11, s35, s18, v8
	s_cbranch_execnz .LBB4_10
	s_branch .LBB4_14
.LBB4_13:                               ;   in Loop: Header=BB4_11 Depth=3
                                        ; implicit-def: $vgpr11
.LBB4_14:                               ;   in Loop: Header=BB4_11 Depth=3
	v_add_nc_u32_e32 v11, s34, v7
	s_branch .LBB4_10
.LBB4_15:                               ;   in Loop: Header=BB4_3 Depth=1
	s_or_b32 exec_lo, exec_lo, s8
	s_add_co_i32 s9, s23, -1
	s_cmp_le_i32 s23, s26
	v_subrev_nc_u32_e32 v3, s30, v3
	s_cselect_b32 s8, -1, 0
	s_mov_b32 s23, s9
	s_and_b32 vcc_lo, exec_lo, s8
	s_cbranch_vccz .LBB4_3
	s_branch .LBB4_21
.LBB4_16:                               ;   in Loop: Header=BB4_3 Depth=1
	s_ashr_i32 s9, s8, 31
	s_mov_b32 s34, 0
	s_lshl_b64 s[8:9], s[8:9], 2
	s_delay_alu instid0(SALU_CYCLE_1)
	s_add_nc_u64 s[8:9], s[4:5], s[8:9]
	s_branch .LBB4_18
.LBB4_17:                               ;   in Loop: Header=BB4_18 Depth=2
	global_load_b32 v6, v5, s[8:9] scope:SCOPE_DEV
	s_cmp_lt_u32 s34, 0xf43
	s_cselect_b32 s35, -1, 0
	s_delay_alu instid0(SALU_CYCLE_1)
	s_cmp_lg_u32 s35, 0
	s_add_co_ci_u32 s34, s34, 0
	s_wait_loadcnt 0x0
	v_cmp_ne_u32_e32 vcc_lo, 0, v6
	s_cbranch_vccnz .LBB4_6
.LBB4_18:                               ;   Parent Loop BB4_3 Depth=1
                                        ; =>  This Loop Header: Depth=2
                                        ;       Child Loop BB4_19 Depth 3
	s_cmp_eq_u32 s34, 0
	s_mov_b32 s35, s34
	s_cbranch_scc1 .LBB4_17
.LBB4_19:                               ;   Parent Loop BB4_3 Depth=1
                                        ;     Parent Loop BB4_18 Depth=2
                                        ; =>    This Inner Loop Header: Depth=3
	s_add_co_i32 s35, s35, -1
	s_sleep 1
	s_cmp_eq_u32 s35, 0
	s_cbranch_scc0 .LBB4_19
	s_branch .LBB4_17
.LBB4_20:
	s_mov_b32 s28, s24
.LBB4_21:
	s_cmp_lt_i32 s6, s24
	v_cmp_gt_i32_e32 vcc_lo, s25, v1
	s_cselect_b32 s0, -1, 0
	s_cmp_eq_u32 s6, s28
	s_cselect_b32 s1, -1, 0
	s_delay_alu instid0(SALU_CYCLE_1) | instskip(SKIP_2) | instid1(SALU_CYCLE_1)
	s_and_b32 s1, vcc_lo, s1
	s_cmp_gt_i32 s18, 0
	s_cselect_b32 s8, -1, 0
	s_and_b32 s1, s1, s8
	s_mov_b32 s8, 0
	s_and_b32 s9, s1, s0
	s_wait_xcnt 0x0
	s_and_saveexec_b32 s1, s9
	s_cbranch_execz .LBB4_37
; %bb.22:
	v_add_nc_u32_e32 v3, s7, v4
	s_cmp_eq_u32 s13, 0
	s_mov_b32 s10, 0
	s_cselect_b32 s8, -1, 0
	s_cmp_lg_u32 s14, 0
	v_mul_lo_u32 v3, s22, v3
	s_cselect_b32 s9, -1, 0
	s_add_co_i32 s11, s23, 1
	s_delay_alu instid0(SALU_CYCLE_1) | instskip(SKIP_4) | instid1(VALU_DEP_1)
	s_mul_i32 s13, s18, s11
	s_mul_i32 s11, s23, s18
	s_add_co_i32 s14, s13, -1
	s_lshl_b32 s13, s22, 4
	s_mul_i32 s14, s18, s14
	v_add3_u32 v5, v2, v3, s19
	s_mov_b32 s19, s18
	v_mov_b32_e32 v7, 1.0
	s_and_not1_b32 vcc_lo, exec_lo, s8
	s_add_co_i32 s23, s19, -1
	s_cbranch_vccnz .LBB4_24
.LBB4_23:
	s_add_co_i32 s24, s23, s11
	s_delay_alu instid0(SALU_CYCLE_1) | instskip(NEXT) | instid1(SALU_CYCLE_1)
	s_mul_i32 s24, s24, s18
	s_add_co_i32 s24, s24, s23
	s_delay_alu instid0(SALU_CYCLE_1)
	v_mov_b32_e32 v2, s24
	global_load_b32 v7, v2, s[16:17] scale_offset
.LBB4_24:                               ; =>This Loop Header: Depth=1
                                        ;     Child Loop BB4_29 Depth 2
	s_add_co_i32 s24, s23, s7
	s_wait_loadcnt 0x0
	v_cmp_eq_f32_e32 vcc_lo, 0, v7
	s_wait_xcnt 0x0
	v_mad_u32 v2, s24, s22, v1
	global_load_b32 v6, v2, s[20:21] scale_offset
	s_cbranch_vccnz .LBB4_26
; %bb.25:                               ;   in Loop: Header=BB4_24 Depth=1
	s_wait_loadcnt 0x0
	v_div_scale_f32 v3, null, v7, v7, v6
	s_delay_alu instid0(VALU_DEP_1) | instskip(SKIP_1) | instid1(TRANS32_DEP_1)
	v_rcp_f32_e32 v8, v3
	v_nop
	v_fma_f32 v9, -v3, v8, 1.0
	s_delay_alu instid0(VALU_DEP_1) | instskip(SKIP_1) | instid1(VALU_DEP_1)
	v_fmac_f32_e32 v8, v9, v8
	v_div_scale_f32 v9, vcc_lo, v6, v7, v6
	v_mul_f32_e32 v10, v9, v8
	s_delay_alu instid0(VALU_DEP_1) | instskip(NEXT) | instid1(VALU_DEP_1)
	v_fma_f32 v11, -v3, v10, v9
	v_fmac_f32_e32 v10, v11, v8
	s_delay_alu instid0(VALU_DEP_1) | instskip(SKIP_1) | instid1(VALU_DEP_2)
	v_fma_f32 v9, -v3, v10, v9
	v_ashrrev_i32_e32 v3, 31, v2
	v_div_fmas_f32 v8, v9, v8, v10
	s_wait_xcnt 0x0
	s_delay_alu instid0(VALU_DEP_2) | instskip(NEXT) | instid1(VALU_DEP_2)
	v_lshl_add_u64 v[2:3], v[2:3], 2, s[20:21]
	v_div_fixup_f32 v6, v8, v7, v6
	global_store_b32 v[2:3], v6, off
	s_mov_b32 s24, exec_lo
	s_wait_xcnt 0x0
	v_cmpx_gt_i32_e64 s23, v4
	s_cbranch_execnz .LBB4_27
	s_branch .LBB4_33
.LBB4_26:                               ;   in Loop: Header=BB4_24 Depth=1
	s_mov_b32 s10, -1
	s_mov_b32 s24, exec_lo
	s_wait_xcnt 0x0
	v_cmpx_gt_i32_e64 s23, v4
	s_cbranch_execz .LBB4_33
.LBB4_27:                               ;   in Loop: Header=BB4_24 Depth=1
	v_dual_mov_b32 v2, v5 :: v_dual_mov_b32 v3, v4
	s_mov_b32 s25, 0
	s_branch .LBB4_29
.LBB4_28:                               ;   in Loop: Header=BB4_29 Depth=2
	global_load_b32 v8, v7, s[16:17] scale_offset
	global_load_b32 v9, v2, s[20:21] scale_offset
	s_wait_loadcnt 0x0
	s_wait_xcnt 0x1
	v_dual_add_nc_u32 v3, 16, v3 :: v_dual_fma_f32 v7, -v6, v8, v9
	s_delay_alu instid0(VALU_DEP_1) | instskip(SKIP_4) | instid1(SALU_CYCLE_1)
	v_cmp_le_i32_e32 vcc_lo, s23, v3
	global_store_b32 v2, v7, s[20:21] scale_offset
	s_wait_xcnt 0x0
	v_add_nc_u32_e32 v2, s13, v2
	s_or_b32 s25, vcc_lo, s25
	s_and_not1_b32 exec_lo, exec_lo, s25
	s_cbranch_execz .LBB4_33
.LBB4_29:                               ;   Parent Loop BB4_24 Depth=1
                                        ; =>  This Inner Loop Header: Depth=2
	s_and_b32 vcc_lo, exec_lo, s9
	s_cbranch_vccz .LBB4_31
; %bb.30:                               ;   in Loop: Header=BB4_29 Depth=2
	v_add_nc_u32_e32 v7, s14, v3
	s_cbranch_execnz .LBB4_28
	s_branch .LBB4_32
.LBB4_31:                               ;   in Loop: Header=BB4_29 Depth=2
                                        ; implicit-def: $vgpr7
.LBB4_32:                               ;   in Loop: Header=BB4_29 Depth=2
	v_add_nc_u32_e32 v7, s11, v3
	s_delay_alu instid0(VALU_DEP_1)
	v_mad_u32 v7, v7, s18, s23
	s_branch .LBB4_28
.LBB4_33:                               ;   in Loop: Header=BB4_24 Depth=1
	s_or_b32 exec_lo, exec_lo, s24
; %bb.34:                               ;   in Loop: Header=BB4_24 Depth=1
	s_sub_co_i32 s14, s14, s18
	s_cmp_lt_i32 s19, 2
	s_cbranch_scc1 .LBB4_36
; %bb.35:                               ;   in Loop: Header=BB4_24 Depth=1
	s_mov_b32 s19, s23
	v_mov_b32_e32 v7, 1.0
	s_and_not1_b32 vcc_lo, exec_lo, s8
	s_add_co_i32 s23, s19, -1
	s_cbranch_vccnz .LBB4_24
	s_branch .LBB4_23
.LBB4_36:
	s_and_b32 s8, s10, exec_lo
.LBB4_37:
	s_or_b32 exec_lo, exec_lo, s1
	v_cmp_eq_u32_e32 vcc_lo, 0, v0
	global_wb scope:SCOPE_DEV
	s_wait_loadcnt 0x0
	s_wait_storecnt 0x0
	global_inv scope:SCOPE_DEV
	s_wait_loadcnt 0x0
	s_barrier_signal -1
	s_barrier_wait -1
	s_and_b32 s0, vcc_lo, s0
	s_delay_alu instid0(SALU_CYCLE_1)
	s_and_saveexec_b32 s1, s0
	s_cbranch_execz .LBB4_41
; %bb.38:
	s_add_co_i32 s0, s6, s15
	s_delay_alu instid0(SALU_CYCLE_1)
	v_dual_mov_b32 v0, 1 :: v_dual_mov_b32 v1, s0
	global_store_b32 v1, v0, s[4:5] scale_offset scope:SCOPE_DEV
	s_wait_xcnt 0x0
	s_and_b32 exec_lo, exec_lo, s8
	s_cbranch_execz .LBB4_41
; %bb.39:
	v_mbcnt_lo_u32_b32 v0, exec_lo, 0
	s_delay_alu instid0(VALU_DEP_1)
	v_cmp_eq_u32_e32 vcc_lo, 0, v0
	s_and_b32 exec_lo, exec_lo, vcc_lo
	s_cbranch_execz .LBB4_41
; %bb.40:
	s_add_co_i32 s0, s6, s12
	s_delay_alu instid0(SALU_CYCLE_1)
	v_dual_mov_b32 v0, 0 :: v_dual_mov_b32 v1, s0
	global_atomic_min_i32 v0, v1, s[2:3] scope:SCOPE_DEV
.LBB4_41:
	s_endpgm
	.section	.rodata,"a",@progbits
	.p2align	6, 0x0
	.amdhsa_kernel _ZN9rocsparseL24bsrsm_upper_large_kernelILj256ELj16ELb1EfEEviiPKiS2_PKT2_iPS3_iPiS2_S7_21rocsparse_index_base_20rocsparse_diag_type_20rocsparse_direction_
		.amdhsa_group_segment_fixed_size 0
		.amdhsa_private_segment_fixed_size 0
		.amdhsa_kernarg_size 92
		.amdhsa_user_sgpr_count 2
		.amdhsa_user_sgpr_dispatch_ptr 0
		.amdhsa_user_sgpr_queue_ptr 0
		.amdhsa_user_sgpr_kernarg_segment_ptr 1
		.amdhsa_user_sgpr_dispatch_id 0
		.amdhsa_user_sgpr_kernarg_preload_length 0
		.amdhsa_user_sgpr_kernarg_preload_offset 0
		.amdhsa_user_sgpr_private_segment_size 0
		.amdhsa_wavefront_size32 1
		.amdhsa_uses_dynamic_stack 0
		.amdhsa_enable_private_segment 0
		.amdhsa_system_sgpr_workgroup_id_x 1
		.amdhsa_system_sgpr_workgroup_id_y 0
		.amdhsa_system_sgpr_workgroup_id_z 0
		.amdhsa_system_sgpr_workgroup_info 0
		.amdhsa_system_vgpr_workitem_id 0
		.amdhsa_next_free_vgpr 14
		.amdhsa_next_free_sgpr 36
		.amdhsa_named_barrier_count 0
		.amdhsa_reserve_vcc 1
		.amdhsa_float_round_mode_32 0
		.amdhsa_float_round_mode_16_64 0
		.amdhsa_float_denorm_mode_32 3
		.amdhsa_float_denorm_mode_16_64 3
		.amdhsa_fp16_overflow 0
		.amdhsa_memory_ordered 1
		.amdhsa_forward_progress 1
		.amdhsa_inst_pref_size 13
		.amdhsa_round_robin_scheduling 0
		.amdhsa_exception_fp_ieee_invalid_op 0
		.amdhsa_exception_fp_denorm_src 0
		.amdhsa_exception_fp_ieee_div_zero 0
		.amdhsa_exception_fp_ieee_overflow 0
		.amdhsa_exception_fp_ieee_underflow 0
		.amdhsa_exception_fp_ieee_inexact 0
		.amdhsa_exception_int_div_zero 0
	.end_amdhsa_kernel
	.section	.text._ZN9rocsparseL24bsrsm_upper_large_kernelILj256ELj16ELb1EfEEviiPKiS2_PKT2_iPS3_iPiS2_S7_21rocsparse_index_base_20rocsparse_diag_type_20rocsparse_direction_,"axG",@progbits,_ZN9rocsparseL24bsrsm_upper_large_kernelILj256ELj16ELb1EfEEviiPKiS2_PKT2_iPS3_iPiS2_S7_21rocsparse_index_base_20rocsparse_diag_type_20rocsparse_direction_,comdat
.Lfunc_end4:
	.size	_ZN9rocsparseL24bsrsm_upper_large_kernelILj256ELj16ELb1EfEEviiPKiS2_PKT2_iPS3_iPiS2_S7_21rocsparse_index_base_20rocsparse_diag_type_20rocsparse_direction_, .Lfunc_end4-_ZN9rocsparseL24bsrsm_upper_large_kernelILj256ELj16ELb1EfEEviiPKiS2_PKT2_iPS3_iPiS2_S7_21rocsparse_index_base_20rocsparse_diag_type_20rocsparse_direction_
                                        ; -- End function
	.set _ZN9rocsparseL24bsrsm_upper_large_kernelILj256ELj16ELb1EfEEviiPKiS2_PKT2_iPS3_iPiS2_S7_21rocsparse_index_base_20rocsparse_diag_type_20rocsparse_direction_.num_vgpr, 14
	.set _ZN9rocsparseL24bsrsm_upper_large_kernelILj256ELj16ELb1EfEEviiPKiS2_PKT2_iPS3_iPiS2_S7_21rocsparse_index_base_20rocsparse_diag_type_20rocsparse_direction_.num_agpr, 0
	.set _ZN9rocsparseL24bsrsm_upper_large_kernelILj256ELj16ELb1EfEEviiPKiS2_PKT2_iPS3_iPiS2_S7_21rocsparse_index_base_20rocsparse_diag_type_20rocsparse_direction_.numbered_sgpr, 36
	.set _ZN9rocsparseL24bsrsm_upper_large_kernelILj256ELj16ELb1EfEEviiPKiS2_PKT2_iPS3_iPiS2_S7_21rocsparse_index_base_20rocsparse_diag_type_20rocsparse_direction_.num_named_barrier, 0
	.set _ZN9rocsparseL24bsrsm_upper_large_kernelILj256ELj16ELb1EfEEviiPKiS2_PKT2_iPS3_iPiS2_S7_21rocsparse_index_base_20rocsparse_diag_type_20rocsparse_direction_.private_seg_size, 0
	.set _ZN9rocsparseL24bsrsm_upper_large_kernelILj256ELj16ELb1EfEEviiPKiS2_PKT2_iPS3_iPiS2_S7_21rocsparse_index_base_20rocsparse_diag_type_20rocsparse_direction_.uses_vcc, 1
	.set _ZN9rocsparseL24bsrsm_upper_large_kernelILj256ELj16ELb1EfEEviiPKiS2_PKT2_iPS3_iPiS2_S7_21rocsparse_index_base_20rocsparse_diag_type_20rocsparse_direction_.uses_flat_scratch, 0
	.set _ZN9rocsparseL24bsrsm_upper_large_kernelILj256ELj16ELb1EfEEviiPKiS2_PKT2_iPS3_iPiS2_S7_21rocsparse_index_base_20rocsparse_diag_type_20rocsparse_direction_.has_dyn_sized_stack, 0
	.set _ZN9rocsparseL24bsrsm_upper_large_kernelILj256ELj16ELb1EfEEviiPKiS2_PKT2_iPS3_iPiS2_S7_21rocsparse_index_base_20rocsparse_diag_type_20rocsparse_direction_.has_recursion, 0
	.set _ZN9rocsparseL24bsrsm_upper_large_kernelILj256ELj16ELb1EfEEviiPKiS2_PKT2_iPS3_iPiS2_S7_21rocsparse_index_base_20rocsparse_diag_type_20rocsparse_direction_.has_indirect_call, 0
	.section	.AMDGPU.csdata,"",@progbits
; Kernel info:
; codeLenInByte = 1660
; TotalNumSgprs: 38
; NumVgprs: 14
; ScratchSize: 0
; MemoryBound: 0
; FloatMode: 240
; IeeeMode: 1
; LDSByteSize: 0 bytes/workgroup (compile time only)
; SGPRBlocks: 0
; VGPRBlocks: 0
; NumSGPRsForWavesPerEU: 38
; NumVGPRsForWavesPerEU: 14
; NamedBarCnt: 0
; Occupancy: 16
; WaveLimiterHint : 1
; COMPUTE_PGM_RSRC2:SCRATCH_EN: 0
; COMPUTE_PGM_RSRC2:USER_SGPR: 2
; COMPUTE_PGM_RSRC2:TRAP_HANDLER: 0
; COMPUTE_PGM_RSRC2:TGID_X_EN: 1
; COMPUTE_PGM_RSRC2:TGID_Y_EN: 0
; COMPUTE_PGM_RSRC2:TGID_Z_EN: 0
; COMPUTE_PGM_RSRC2:TIDIG_COMP_CNT: 0
	.section	.text._ZN9rocsparseL24bsrsm_lower_large_kernelILj256ELj16ELb1EfEEviiPKiS2_PKT2_iPS3_iPiS2_S7_21rocsparse_index_base_20rocsparse_diag_type_20rocsparse_direction_,"axG",@progbits,_ZN9rocsparseL24bsrsm_lower_large_kernelILj256ELj16ELb1EfEEviiPKiS2_PKT2_iPS3_iPiS2_S7_21rocsparse_index_base_20rocsparse_diag_type_20rocsparse_direction_,comdat
	.globl	_ZN9rocsparseL24bsrsm_lower_large_kernelILj256ELj16ELb1EfEEviiPKiS2_PKT2_iPS3_iPiS2_S7_21rocsparse_index_base_20rocsparse_diag_type_20rocsparse_direction_ ; -- Begin function _ZN9rocsparseL24bsrsm_lower_large_kernelILj256ELj16ELb1EfEEviiPKiS2_PKT2_iPS3_iPiS2_S7_21rocsparse_index_base_20rocsparse_diag_type_20rocsparse_direction_
	.p2align	8
	.type	_ZN9rocsparseL24bsrsm_lower_large_kernelILj256ELj16ELb1EfEEviiPKiS2_PKT2_iPS3_iPiS2_S7_21rocsparse_index_base_20rocsparse_diag_type_20rocsparse_direction_,@function
_ZN9rocsparseL24bsrsm_lower_large_kernelILj256ELj16ELb1EfEEviiPKiS2_PKT2_iPS3_iPiS2_S7_21rocsparse_index_base_20rocsparse_diag_type_20rocsparse_direction_: ; @_ZN9rocsparseL24bsrsm_lower_large_kernelILj256ELj16ELb1EfEEviiPKiS2_PKT2_iPS3_iPiS2_S7_21rocsparse_index_base_20rocsparse_diag_type_20rocsparse_direction_
; %bb.0:
	s_clause 0x1
	s_load_b64 s[24:25], s[0:1], 0x0
	s_load_b128 s[8:11], s[0:1], 0x8
	s_bfe_u32 s4, ttmp6, 0x4000c
	s_and_b32 s3, ttmp6, 15
	s_add_co_i32 s4, s4, 1
	s_getreg_b32 s5, hwreg(HW_REG_IB_STS2, 6, 4)
	s_mul_i32 s4, ttmp9, s4
	v_dual_lshrrev_b32 v2, 4, v0 :: v_dual_bitop2_b32 v3, 15, v0 bitop3:0x40
	s_add_co_i32 s3, s3, s4
	s_wait_kmcnt 0x0
	s_cvt_f32_u32 s2, s24
	s_sub_co_i32 s6, 0, s24
	s_delay_alu instid0(SALU_CYCLE_2) | instskip(SKIP_1) | instid1(TRANS32_DEP_1)
	v_rcp_iflag_f32_e32 v1, s2
	v_nop
	v_readfirstlane_b32 s2, v1
	s_mul_f32 s2, s2, 0x4f7ffffe
	s_delay_alu instid0(SALU_CYCLE_3) | instskip(NEXT) | instid1(SALU_CYCLE_3)
	s_cvt_u32_f32 s2, s2
	s_mul_i32 s6, s6, s2
	s_delay_alu instid0(SALU_CYCLE_1) | instskip(NEXT) | instid1(SALU_CYCLE_1)
	s_mul_hi_u32 s6, s2, s6
	s_add_co_i32 s2, s2, s6
	s_cmp_eq_u32 s5, 0
	s_load_b128 s[4:7], s[0:1], 0x38
	s_cselect_b32 s3, ttmp9, s3
	s_delay_alu instid0(SALU_CYCLE_1) | instskip(NEXT) | instid1(SALU_CYCLE_1)
	s_mul_hi_u32 s2, s3, s2
	s_mul_i32 s12, s2, s24
	s_add_co_i32 s13, s2, 1
	s_sub_co_i32 s12, s3, s12
	s_delay_alu instid0(SALU_CYCLE_1)
	s_sub_co_i32 s14, s12, s24
	s_cmp_ge_u32 s12, s24
	s_cselect_b32 s2, s13, s2
	s_cselect_b32 s12, s14, s12
	s_add_co_i32 s13, s2, 1
	s_cmp_ge_u32 s12, s24
	s_cselect_b32 s19, s13, s2
	s_delay_alu instid0(SALU_CYCLE_1) | instskip(SKIP_4) | instid1(SALU_CYCLE_1)
	s_mul_i32 s15, s19, s24
	s_lshl_b32 s19, s19, 4
	s_sub_co_i32 s2, s3, s15
	v_or_b32_e32 v1, s19, v2
	s_ashr_i32 s3, s2, 31
	s_lshl_b64 s[12:13], s[2:3], 2
	s_load_b64 s[2:3], s[0:1], 0x48
	s_wait_kmcnt 0x0
	s_add_nc_u64 s[6:7], s[6:7], s[12:13]
	v_cmp_gt_i32_e32 vcc_lo, s25, v1
	s_load_b32 s6, s[6:7], 0x0
	s_wait_kmcnt 0x0
	s_ashr_i32 s7, s6, 31
	s_delay_alu instid0(SALU_CYCLE_1) | instskip(NEXT) | instid1(SALU_CYCLE_1)
	s_lshl_b64 s[12:13], s[6:7], 2
	s_add_nc_u64 s[26:27], s[8:9], s[12:13]
	s_load_b96 s[12:14], s[0:1], 0x50
	s_load_b64 s[8:9], s[26:27], 0x0
	s_clause 0x1
	s_load_b96 s[16:18], s[0:1], 0x18
	s_load_b96 s[20:22], s[0:1], 0x28
	s_wait_xcnt 0x0
	v_cmp_eq_u32_e64 s0, 0, v0
	s_wait_kmcnt 0x0
	s_sub_co_i32 s23, s8, s12
	s_cmp_ge_i32 s8, s9
	s_mul_i32 s7, s6, s18
	s_mul_i32 s26, s18, s18
	s_cbranch_scc1 .LBB5_20
; %bb.1:
	v_mad_u32 v4, s18, s23, v3
	v_cmp_gt_i32_e64 s1, s18, v3
	s_sub_co_i32 s27, s9, s12
	v_mov_b32_e32 v5, 0
	s_cmp_lg_u32 s14, 0
	s_mul_i32 s30, s22, s18
	s_cselect_b32 s28, -1, 0
	s_and_b32 s29, vcc_lo, s1
	s_lshl_b32 s31, s18, 4
	v_mul_lo_u32 v4, s18, v4
	s_branch .LBB5_3
.LBB5_2:                                ;   in Loop: Header=BB5_3 Depth=1
                                        ; implicit-def: $vgpr4
	s_cbranch_execnz .LBB5_21
.LBB5_3:                                ; =>This Loop Header: Depth=1
                                        ;     Child Loop BB5_18 Depth 2
                                        ;       Child Loop BB5_19 Depth 3
                                        ;     Child Loop BB5_9 Depth 2
                                        ;       Child Loop BB5_11 Depth 3
	s_wait_xcnt 0x0
	v_mov_b32_e32 v6, s23
	global_load_b32 v6, v6, s[10:11] scale_offset
	s_wait_loadcnt 0x0
	v_readfirstlane_b32 s1, v6
	s_sub_co_i32 s1, s1, s12
	s_delay_alu instid0(SALU_CYCLE_1)
	s_cmp_ge_i32 s1, s6
	s_cbranch_scc1 .LBB5_2
; %bb.4:                                ;   in Loop: Header=BB5_3 Depth=1
	s_wait_xcnt 0x0
	s_and_saveexec_b32 s33, s0
	s_cbranch_execz .LBB5_6
; %bb.5:                                ;   in Loop: Header=BB5_3 Depth=1
	s_add_co_i32 s8, s1, s15
	s_delay_alu instid0(SALU_CYCLE_1)
	v_mov_b32_e32 v6, s8
	global_load_b32 v6, v6, s[4:5] scale_offset scope:SCOPE_DEV
	s_wait_loadcnt 0x0
	v_cmp_ne_u32_e32 vcc_lo, 0, v6
	s_cbranch_vccz .LBB5_16
.LBB5_6:                                ;   in Loop: Header=BB5_3 Depth=1
	s_wait_xcnt 0x0
	s_or_b32 exec_lo, exec_lo, s33
	global_wb scope:SCOPE_DEV
	s_wait_storecnt 0x0
	global_inv scope:SCOPE_DEV
	s_wait_loadcnt 0x0
	s_barrier_signal -1
	s_barrier_wait -1
	s_and_saveexec_b32 s8, s29
	s_cbranch_execz .LBB5_15
; %bb.7:                                ;   in Loop: Header=BB5_3 Depth=1
	v_mad_u32 v6, s30, s1, v1
	v_dual_mov_b32 v7, v4 :: v_dual_mov_b32 v8, v3
	s_mul_i32 s9, s23, s18
	s_mov_b32 s33, 0
	s_branch .LBB5_9
.LBB5_8:                                ;   in Loop: Header=BB5_9 Depth=2
	v_dual_add_nc_u32 v10, s7, v8 :: v_dual_add_nc_u32 v8, 16, v8
	v_add_nc_u32_e32 v7, s31, v7
	s_delay_alu instid0(VALU_DEP_2) | instskip(NEXT) | instid1(VALU_DEP_3)
	v_mad_u32 v10, v10, s22, v1
	v_cmp_le_i32_e32 vcc_lo, s18, v8
	s_or_b32 s33, vcc_lo, s33
	global_load_b32 v11, v10, s[20:21] scale_offset
	s_wait_loadcnt 0x0
	v_sub_f32_e32 v9, v11, v9
	global_store_b32 v10, v9, s[20:21] scale_offset
	s_wait_xcnt 0x0
	s_and_not1_b32 exec_lo, exec_lo, s33
	s_cbranch_execz .LBB5_15
.LBB5_9:                                ;   Parent Loop BB5_3 Depth=1
                                        ; =>  This Loop Header: Depth=2
                                        ;       Child Loop BB5_11 Depth 3
	s_delay_alu instid0(VALU_DEP_2)
	v_dual_mov_b32 v9, 0 :: v_dual_mov_b32 v10, v6
	s_mov_b32 s34, 0
	s_branch .LBB5_11
.LBB5_10:                               ;   in Loop: Header=BB5_11 Depth=3
	global_load_b32 v12, v11, s[16:17] scale_offset
	global_load_b32 v13, v10, s[20:21] scale_offset
	s_add_co_i32 s34, s34, 1
	s_wait_xcnt 0x0
	v_add_nc_u32_e32 v10, s22, v10
	s_cmp_eq_u32 s18, s34
	s_wait_loadcnt 0x0
	v_fmac_f32_e32 v9, v12, v13
	s_cbranch_scc1 .LBB5_8
.LBB5_11:                               ;   Parent Loop BB5_3 Depth=1
                                        ;     Parent Loop BB5_9 Depth=2
                                        ; =>    This Inner Loop Header: Depth=3
	s_and_b32 vcc_lo, exec_lo, s28
	s_cbranch_vccz .LBB5_13
; %bb.12:                               ;   in Loop: Header=BB5_11 Depth=3
	s_add_co_i32 s35, s34, s9
	s_delay_alu instid0(SALU_CYCLE_1)
	v_mad_u32 v11, s35, s18, v8
	s_cbranch_execnz .LBB5_10
	s_branch .LBB5_14
.LBB5_13:                               ;   in Loop: Header=BB5_11 Depth=3
                                        ; implicit-def: $vgpr11
.LBB5_14:                               ;   in Loop: Header=BB5_11 Depth=3
	v_add_nc_u32_e32 v11, s34, v7
	s_branch .LBB5_10
.LBB5_15:                               ;   in Loop: Header=BB5_3 Depth=1
	s_or_b32 exec_lo, exec_lo, s8
	s_add_co_i32 s23, s23, 1
	v_add_nc_u32_e32 v4, s26, v4
	s_cmp_ge_i32 s23, s27
	s_cselect_b32 s8, -1, 0
	s_delay_alu instid0(SALU_CYCLE_1)
	s_and_b32 vcc_lo, exec_lo, s8
	s_cbranch_vccz .LBB5_3
	s_branch .LBB5_21
.LBB5_16:                               ;   in Loop: Header=BB5_3 Depth=1
	s_ashr_i32 s9, s8, 31
	s_mov_b32 s34, 0
	s_lshl_b64 s[8:9], s[8:9], 2
	s_delay_alu instid0(SALU_CYCLE_1)
	s_add_nc_u64 s[8:9], s[4:5], s[8:9]
	s_branch .LBB5_18
.LBB5_17:                               ;   in Loop: Header=BB5_18 Depth=2
	global_load_b32 v6, v5, s[8:9] scope:SCOPE_DEV
	s_cmp_lt_u32 s34, 0xf43
	s_cselect_b32 s35, -1, 0
	s_delay_alu instid0(SALU_CYCLE_1)
	s_cmp_lg_u32 s35, 0
	s_add_co_ci_u32 s34, s34, 0
	s_wait_loadcnt 0x0
	v_cmp_ne_u32_e32 vcc_lo, 0, v6
	s_cbranch_vccnz .LBB5_6
.LBB5_18:                               ;   Parent Loop BB5_3 Depth=1
                                        ; =>  This Loop Header: Depth=2
                                        ;       Child Loop BB5_19 Depth 3
	s_cmp_eq_u32 s34, 0
	s_mov_b32 s35, s34
	s_cbranch_scc1 .LBB5_17
.LBB5_19:                               ;   Parent Loop BB5_3 Depth=1
                                        ;     Parent Loop BB5_18 Depth=2
                                        ; =>    This Inner Loop Header: Depth=3
	s_add_co_i32 s35, s35, -1
	s_sleep 1
	s_cmp_eq_u32 s35, 0
	s_cbranch_scc0 .LBB5_19
	s_branch .LBB5_17
.LBB5_20:
	s_mov_b32 s1, s24
.LBB5_21:
	s_cmp_lt_i32 s6, s24
	v_cmp_gt_i32_e32 vcc_lo, s25, v1
	s_cselect_b32 s0, -1, 0
	s_cmp_eq_u32 s6, s1
	s_cselect_b32 s1, -1, 0
	s_delay_alu instid0(SALU_CYCLE_1) | instskip(SKIP_2) | instid1(SALU_CYCLE_1)
	s_and_b32 s1, vcc_lo, s1
	s_cmp_gt_i32 s18, 0
	s_cselect_b32 s8, -1, 0
	s_and_b32 s1, s1, s8
	s_mov_b32 s8, 0
	s_and_b32 s9, s1, s0
	s_wait_xcnt 0x0
	s_and_saveexec_b32 s1, s9
	s_cbranch_execz .LBB5_36
; %bb.22:
	v_add_nc_u32_e32 v4, s7, v3
	s_cmp_eq_u32 s13, 0
	s_mul_i32 s10, s23, s18
	s_cselect_b32 s9, -1, 0
	s_cmp_lg_u32 s14, 0
	v_mad_u32 v5, s22, v4, s22
	v_add_nc_u32_e32 v4, 1, v3
	s_cselect_b32 s11, -1, 0
	s_lshl_b32 s13, s22, 4
	s_mul_i32 s14, s23, s26
	s_mov_b32 s23, 0
	s_delay_alu instid0(VALU_DEP_2)
	v_add3_u32 v5, v2, v5, s19
	s_add_co_i32 s19, s18, 1
	s_branch .LBB5_24
.LBB5_23:                               ;   in Loop: Header=BB5_24 Depth=1
	s_or_b32 exec_lo, exec_lo, s24
	v_add_nc_u32_e32 v5, s22, v5
	s_add_co_i32 s8, s8, 1
	s_add_co_i32 s14, s14, s19
	s_cmp_eq_u32 s8, s18
	s_cbranch_scc1 .LBB5_35
.LBB5_24:                               ; =>This Loop Header: Depth=1
                                        ;     Child Loop BB5_31 Depth 2
	v_mov_b32_e32 v7, 1.0
	s_and_not1_b32 vcc_lo, exec_lo, s9
	s_cbranch_vccnz .LBB5_26
; %bb.25:                               ;   in Loop: Header=BB5_24 Depth=1
	s_add_co_i32 s24, s8, s10
	s_delay_alu instid0(SALU_CYCLE_1) | instskip(NEXT) | instid1(SALU_CYCLE_1)
	s_mul_i32 s24, s24, s18
	s_add_co_i32 s24, s24, s8
	s_delay_alu instid0(SALU_CYCLE_1)
	v_mov_b32_e32 v2, s24
	global_load_b32 v7, v2, s[16:17] scale_offset
.LBB5_26:                               ;   in Loop: Header=BB5_24 Depth=1
	s_add_co_i32 s24, s8, s7
	s_wait_loadcnt 0x0
	v_cmp_eq_f32_e32 vcc_lo, 0, v7
	s_wait_xcnt 0x0
	v_mad_u32 v2, s24, s22, v1
	global_load_b32 v6, v2, s[20:21] scale_offset
	s_cbranch_vccnz .LBB5_28
; %bb.27:                               ;   in Loop: Header=BB5_24 Depth=1
	s_wait_loadcnt 0x0
	v_div_scale_f32 v3, null, v7, v7, v6
	s_delay_alu instid0(VALU_DEP_1) | instskip(SKIP_1) | instid1(TRANS32_DEP_1)
	v_rcp_f32_e32 v8, v3
	v_nop
	v_fma_f32 v9, -v3, v8, 1.0
	s_delay_alu instid0(VALU_DEP_1) | instskip(SKIP_1) | instid1(VALU_DEP_1)
	v_fmac_f32_e32 v8, v9, v8
	v_div_scale_f32 v9, vcc_lo, v6, v7, v6
	v_mul_f32_e32 v10, v9, v8
	s_delay_alu instid0(VALU_DEP_1) | instskip(NEXT) | instid1(VALU_DEP_1)
	v_fma_f32 v11, -v3, v10, v9
	v_fmac_f32_e32 v10, v11, v8
	s_delay_alu instid0(VALU_DEP_1) | instskip(SKIP_1) | instid1(VALU_DEP_2)
	v_fma_f32 v9, -v3, v10, v9
	v_ashrrev_i32_e32 v3, 31, v2
	v_div_fmas_f32 v8, v9, v8, v10
	s_wait_xcnt 0x0
	s_delay_alu instid0(VALU_DEP_2) | instskip(NEXT) | instid1(VALU_DEP_2)
	v_lshl_add_u64 v[2:3], v[2:3], 2, s[20:21]
	v_div_fixup_f32 v6, v8, v7, v6
	global_store_b32 v[2:3], v6, off
	s_wait_xcnt 0x0
	v_add_nc_u32_e32 v2, s8, v4
	s_mov_b32 s24, exec_lo
	s_delay_alu instid0(VALU_DEP_1)
	v_cmpx_gt_i32_e64 s18, v2
	s_cbranch_execz .LBB5_23
	s_branch .LBB5_29
.LBB5_28:                               ;   in Loop: Header=BB5_24 Depth=1
	s_mov_b32 s23, -1
	s_wait_xcnt 0x0
	v_add_nc_u32_e32 v2, s8, v4
	s_mov_b32 s24, exec_lo
	s_delay_alu instid0(VALU_DEP_1)
	v_cmpx_gt_i32_e64 s18, v2
	s_cbranch_execz .LBB5_23
.LBB5_29:                               ;   in Loop: Header=BB5_24 Depth=1
	v_dual_mov_b32 v3, v5 :: v_dual_mov_b32 v7, v4
	s_mov_b32 s25, 0
	s_branch .LBB5_31
.LBB5_30:                               ;   in Loop: Header=BB5_31 Depth=2
	global_load_b32 v9, v8, s[16:17] scale_offset
	global_load_b32 v10, v3, s[20:21] scale_offset
	v_dual_add_nc_u32 v7, 16, v7 :: v_dual_add_nc_u32 v2, 16, v2
	s_wait_loadcnt 0x0
	s_wait_xcnt 0x1
	s_delay_alu instid0(VALU_DEP_1)
	v_dual_fma_f32 v9, -v6, v9, v10 :: v_dual_add_nc_u32 v8, s8, v7
	global_store_b32 v3, v9, s[20:21] scale_offset
	v_cmp_le_i32_e32 vcc_lo, s18, v8
	s_wait_xcnt 0x0
	v_add_nc_u32_e32 v3, s13, v3
	s_or_b32 s25, vcc_lo, s25
	s_delay_alu instid0(SALU_CYCLE_1)
	s_and_not1_b32 exec_lo, exec_lo, s25
	s_cbranch_execz .LBB5_23
.LBB5_31:                               ;   Parent Loop BB5_24 Depth=1
                                        ; =>  This Inner Loop Header: Depth=2
	s_and_b32 vcc_lo, exec_lo, s11
	s_cbranch_vccz .LBB5_33
; %bb.32:                               ;   in Loop: Header=BB5_31 Depth=2
	v_add_nc_u32_e32 v8, s14, v7
	s_cbranch_execnz .LBB5_30
	s_branch .LBB5_34
.LBB5_33:                               ;   in Loop: Header=BB5_31 Depth=2
                                        ; implicit-def: $vgpr8
.LBB5_34:                               ;   in Loop: Header=BB5_31 Depth=2
	v_add_nc_u32_e32 v8, s10, v2
	s_delay_alu instid0(VALU_DEP_1)
	v_mad_u32 v8, v8, s18, s8
	s_branch .LBB5_30
.LBB5_35:
	s_and_b32 s8, s23, exec_lo
.LBB5_36:
	s_or_b32 exec_lo, exec_lo, s1
	v_cmp_eq_u32_e32 vcc_lo, 0, v0
	global_wb scope:SCOPE_DEV
	s_wait_loadcnt 0x0
	s_wait_storecnt 0x0
	global_inv scope:SCOPE_DEV
	s_wait_loadcnt 0x0
	s_barrier_signal -1
	s_barrier_wait -1
	s_and_b32 s0, vcc_lo, s0
	s_delay_alu instid0(SALU_CYCLE_1)
	s_and_saveexec_b32 s1, s0
	s_cbranch_execz .LBB5_40
; %bb.37:
	s_add_co_i32 s0, s6, s15
	s_delay_alu instid0(SALU_CYCLE_1)
	v_dual_mov_b32 v0, 1 :: v_dual_mov_b32 v1, s0
	global_store_b32 v1, v0, s[4:5] scale_offset scope:SCOPE_DEV
	s_wait_xcnt 0x0
	s_and_b32 exec_lo, exec_lo, s8
	s_cbranch_execz .LBB5_40
; %bb.38:
	v_mbcnt_lo_u32_b32 v0, exec_lo, 0
	s_delay_alu instid0(VALU_DEP_1)
	v_cmp_eq_u32_e32 vcc_lo, 0, v0
	s_and_b32 exec_lo, exec_lo, vcc_lo
	s_cbranch_execz .LBB5_40
; %bb.39:
	s_add_co_i32 s0, s6, s12
	s_delay_alu instid0(SALU_CYCLE_1)
	v_dual_mov_b32 v0, 0 :: v_dual_mov_b32 v1, s0
	global_atomic_min_i32 v0, v1, s[2:3] scope:SCOPE_DEV
.LBB5_40:
	s_endpgm
	.section	.rodata,"a",@progbits
	.p2align	6, 0x0
	.amdhsa_kernel _ZN9rocsparseL24bsrsm_lower_large_kernelILj256ELj16ELb1EfEEviiPKiS2_PKT2_iPS3_iPiS2_S7_21rocsparse_index_base_20rocsparse_diag_type_20rocsparse_direction_
		.amdhsa_group_segment_fixed_size 0
		.amdhsa_private_segment_fixed_size 0
		.amdhsa_kernarg_size 92
		.amdhsa_user_sgpr_count 2
		.amdhsa_user_sgpr_dispatch_ptr 0
		.amdhsa_user_sgpr_queue_ptr 0
		.amdhsa_user_sgpr_kernarg_segment_ptr 1
		.amdhsa_user_sgpr_dispatch_id 0
		.amdhsa_user_sgpr_kernarg_preload_length 0
		.amdhsa_user_sgpr_kernarg_preload_offset 0
		.amdhsa_user_sgpr_private_segment_size 0
		.amdhsa_wavefront_size32 1
		.amdhsa_uses_dynamic_stack 0
		.amdhsa_enable_private_segment 0
		.amdhsa_system_sgpr_workgroup_id_x 1
		.amdhsa_system_sgpr_workgroup_id_y 0
		.amdhsa_system_sgpr_workgroup_id_z 0
		.amdhsa_system_sgpr_workgroup_info 0
		.amdhsa_system_vgpr_workitem_id 0
		.amdhsa_next_free_vgpr 14
		.amdhsa_next_free_sgpr 36
		.amdhsa_named_barrier_count 0
		.amdhsa_reserve_vcc 1
		.amdhsa_float_round_mode_32 0
		.amdhsa_float_round_mode_16_64 0
		.amdhsa_float_denorm_mode_32 3
		.amdhsa_float_denorm_mode_16_64 3
		.amdhsa_fp16_overflow 0
		.amdhsa_memory_ordered 1
		.amdhsa_forward_progress 1
		.amdhsa_inst_pref_size 14
		.amdhsa_round_robin_scheduling 0
		.amdhsa_exception_fp_ieee_invalid_op 0
		.amdhsa_exception_fp_denorm_src 0
		.amdhsa_exception_fp_ieee_div_zero 0
		.amdhsa_exception_fp_ieee_overflow 0
		.amdhsa_exception_fp_ieee_underflow 0
		.amdhsa_exception_fp_ieee_inexact 0
		.amdhsa_exception_int_div_zero 0
	.end_amdhsa_kernel
	.section	.text._ZN9rocsparseL24bsrsm_lower_large_kernelILj256ELj16ELb1EfEEviiPKiS2_PKT2_iPS3_iPiS2_S7_21rocsparse_index_base_20rocsparse_diag_type_20rocsparse_direction_,"axG",@progbits,_ZN9rocsparseL24bsrsm_lower_large_kernelILj256ELj16ELb1EfEEviiPKiS2_PKT2_iPS3_iPiS2_S7_21rocsparse_index_base_20rocsparse_diag_type_20rocsparse_direction_,comdat
.Lfunc_end5:
	.size	_ZN9rocsparseL24bsrsm_lower_large_kernelILj256ELj16ELb1EfEEviiPKiS2_PKT2_iPS3_iPiS2_S7_21rocsparse_index_base_20rocsparse_diag_type_20rocsparse_direction_, .Lfunc_end5-_ZN9rocsparseL24bsrsm_lower_large_kernelILj256ELj16ELb1EfEEviiPKiS2_PKT2_iPS3_iPiS2_S7_21rocsparse_index_base_20rocsparse_diag_type_20rocsparse_direction_
                                        ; -- End function
	.set _ZN9rocsparseL24bsrsm_lower_large_kernelILj256ELj16ELb1EfEEviiPKiS2_PKT2_iPS3_iPiS2_S7_21rocsparse_index_base_20rocsparse_diag_type_20rocsparse_direction_.num_vgpr, 14
	.set _ZN9rocsparseL24bsrsm_lower_large_kernelILj256ELj16ELb1EfEEviiPKiS2_PKT2_iPS3_iPiS2_S7_21rocsparse_index_base_20rocsparse_diag_type_20rocsparse_direction_.num_agpr, 0
	.set _ZN9rocsparseL24bsrsm_lower_large_kernelILj256ELj16ELb1EfEEviiPKiS2_PKT2_iPS3_iPiS2_S7_21rocsparse_index_base_20rocsparse_diag_type_20rocsparse_direction_.numbered_sgpr, 36
	.set _ZN9rocsparseL24bsrsm_lower_large_kernelILj256ELj16ELb1EfEEviiPKiS2_PKT2_iPS3_iPiS2_S7_21rocsparse_index_base_20rocsparse_diag_type_20rocsparse_direction_.num_named_barrier, 0
	.set _ZN9rocsparseL24bsrsm_lower_large_kernelILj256ELj16ELb1EfEEviiPKiS2_PKT2_iPS3_iPiS2_S7_21rocsparse_index_base_20rocsparse_diag_type_20rocsparse_direction_.private_seg_size, 0
	.set _ZN9rocsparseL24bsrsm_lower_large_kernelILj256ELj16ELb1EfEEviiPKiS2_PKT2_iPS3_iPiS2_S7_21rocsparse_index_base_20rocsparse_diag_type_20rocsparse_direction_.uses_vcc, 1
	.set _ZN9rocsparseL24bsrsm_lower_large_kernelILj256ELj16ELb1EfEEviiPKiS2_PKT2_iPS3_iPiS2_S7_21rocsparse_index_base_20rocsparse_diag_type_20rocsparse_direction_.uses_flat_scratch, 0
	.set _ZN9rocsparseL24bsrsm_lower_large_kernelILj256ELj16ELb1EfEEviiPKiS2_PKT2_iPS3_iPiS2_S7_21rocsparse_index_base_20rocsparse_diag_type_20rocsparse_direction_.has_dyn_sized_stack, 0
	.set _ZN9rocsparseL24bsrsm_lower_large_kernelILj256ELj16ELb1EfEEviiPKiS2_PKT2_iPS3_iPiS2_S7_21rocsparse_index_base_20rocsparse_diag_type_20rocsparse_direction_.has_recursion, 0
	.set _ZN9rocsparseL24bsrsm_lower_large_kernelILj256ELj16ELb1EfEEviiPKiS2_PKT2_iPS3_iPiS2_S7_21rocsparse_index_base_20rocsparse_diag_type_20rocsparse_direction_.has_indirect_call, 0
	.section	.AMDGPU.csdata,"",@progbits
; Kernel info:
; codeLenInByte = 1668
; TotalNumSgprs: 38
; NumVgprs: 14
; ScratchSize: 0
; MemoryBound: 0
; FloatMode: 240
; IeeeMode: 1
; LDSByteSize: 0 bytes/workgroup (compile time only)
; SGPRBlocks: 0
; VGPRBlocks: 0
; NumSGPRsForWavesPerEU: 38
; NumVGPRsForWavesPerEU: 14
; NamedBarCnt: 0
; Occupancy: 16
; WaveLimiterHint : 1
; COMPUTE_PGM_RSRC2:SCRATCH_EN: 0
; COMPUTE_PGM_RSRC2:USER_SGPR: 2
; COMPUTE_PGM_RSRC2:TRAP_HANDLER: 0
; COMPUTE_PGM_RSRC2:TGID_X_EN: 1
; COMPUTE_PGM_RSRC2:TGID_Y_EN: 0
; COMPUTE_PGM_RSRC2:TGID_Z_EN: 0
; COMPUTE_PGM_RSRC2:TIDIG_COMP_CNT: 0
	.section	.text._ZN9rocsparseL24bsrsm_upper_large_kernelILj64ELj16ELb0EfEEviiPKiS2_PKT2_iPS3_iPiS2_S7_21rocsparse_index_base_20rocsparse_diag_type_20rocsparse_direction_,"axG",@progbits,_ZN9rocsparseL24bsrsm_upper_large_kernelILj64ELj16ELb0EfEEviiPKiS2_PKT2_iPS3_iPiS2_S7_21rocsparse_index_base_20rocsparse_diag_type_20rocsparse_direction_,comdat
	.globl	_ZN9rocsparseL24bsrsm_upper_large_kernelILj64ELj16ELb0EfEEviiPKiS2_PKT2_iPS3_iPiS2_S7_21rocsparse_index_base_20rocsparse_diag_type_20rocsparse_direction_ ; -- Begin function _ZN9rocsparseL24bsrsm_upper_large_kernelILj64ELj16ELb0EfEEviiPKiS2_PKT2_iPS3_iPiS2_S7_21rocsparse_index_base_20rocsparse_diag_type_20rocsparse_direction_
	.p2align	8
	.type	_ZN9rocsparseL24bsrsm_upper_large_kernelILj64ELj16ELb0EfEEviiPKiS2_PKT2_iPS3_iPiS2_S7_21rocsparse_index_base_20rocsparse_diag_type_20rocsparse_direction_,@function
_ZN9rocsparseL24bsrsm_upper_large_kernelILj64ELj16ELb0EfEEviiPKiS2_PKT2_iPS3_iPiS2_S7_21rocsparse_index_base_20rocsparse_diag_type_20rocsparse_direction_: ; @_ZN9rocsparseL24bsrsm_upper_large_kernelILj64ELj16ELb0EfEEviiPKiS2_PKT2_iPS3_iPiS2_S7_21rocsparse_index_base_20rocsparse_diag_type_20rocsparse_direction_
; %bb.0:
	s_clause 0x1
	s_load_b64 s[24:25], s[0:1], 0x0
	s_load_b128 s[8:11], s[0:1], 0x8
	s_bfe_u32 s4, ttmp6, 0x4000c
	s_and_b32 s3, ttmp6, 15
	s_add_co_i32 s4, s4, 1
	s_getreg_b32 s5, hwreg(HW_REG_IB_STS2, 6, 4)
	s_mul_i32 s4, ttmp9, s4
	v_dual_lshrrev_b32 v2, 2, v0 :: v_dual_bitop2_b32 v4, 3, v0 bitop3:0x40
	s_add_co_i32 s3, s3, s4
	s_wait_kmcnt 0x0
	s_cvt_f32_u32 s2, s24
	s_sub_co_i32 s6, 0, s24
	s_delay_alu instid0(SALU_CYCLE_2) | instskip(SKIP_1) | instid1(TRANS32_DEP_1)
	v_rcp_iflag_f32_e32 v1, s2
	v_nop
	v_readfirstlane_b32 s2, v1
	s_mul_f32 s2, s2, 0x4f7ffffe
	s_delay_alu instid0(SALU_CYCLE_3) | instskip(NEXT) | instid1(SALU_CYCLE_3)
	s_cvt_u32_f32 s2, s2
	s_mul_i32 s6, s6, s2
	s_delay_alu instid0(SALU_CYCLE_1) | instskip(NEXT) | instid1(SALU_CYCLE_1)
	s_mul_hi_u32 s6, s2, s6
	s_add_co_i32 s2, s2, s6
	s_cmp_eq_u32 s5, 0
	s_load_b128 s[4:7], s[0:1], 0x38
	s_cselect_b32 s3, ttmp9, s3
	s_delay_alu instid0(SALU_CYCLE_1) | instskip(NEXT) | instid1(SALU_CYCLE_1)
	s_mul_hi_u32 s2, s3, s2
	s_mul_i32 s12, s2, s24
	s_add_co_i32 s13, s2, 1
	s_sub_co_i32 s12, s3, s12
	s_delay_alu instid0(SALU_CYCLE_1)
	s_sub_co_i32 s14, s12, s24
	s_cmp_ge_u32 s12, s24
	s_cselect_b32 s2, s13, s2
	s_cselect_b32 s12, s14, s12
	s_add_co_i32 s13, s2, 1
	s_cmp_ge_u32 s12, s24
	s_cselect_b32 s19, s13, s2
	s_delay_alu instid0(SALU_CYCLE_1) | instskip(SKIP_4) | instid1(SALU_CYCLE_1)
	s_mul_i32 s15, s19, s24
	s_lshl_b32 s19, s19, 4
	s_sub_co_i32 s2, s3, s15
	v_or_b32_e32 v1, s19, v2
	s_ashr_i32 s3, s2, 31
	s_lshl_b64 s[12:13], s[2:3], 2
	s_load_b64 s[2:3], s[0:1], 0x48
	s_wait_kmcnt 0x0
	s_add_nc_u64 s[6:7], s[6:7], s[12:13]
	s_load_b96 s[12:14], s[0:1], 0x50
	v_cmp_gt_i32_e32 vcc_lo, s25, v1
	s_load_b32 s6, s[6:7], 0x0
	s_wait_kmcnt 0x0
	s_ashr_i32 s7, s6, 31
	s_delay_alu instid0(SALU_CYCLE_1) | instskip(NEXT) | instid1(SALU_CYCLE_1)
	s_lshl_b64 s[16:17], s[6:7], 2
	s_add_nc_u64 s[8:9], s[8:9], s[16:17]
	s_load_b64 s[26:27], s[8:9], 0x0
	s_clause 0x1
	s_load_b96 s[16:18], s[0:1], 0x18
	s_load_b96 s[20:22], s[0:1], 0x28
	s_wait_xcnt 0x0
	s_not_b32 s0, s12
	s_wait_kmcnt 0x0
	s_add_co_i32 s23, s27, s0
	v_cmp_eq_u32_e64 s0, 0, v0
	s_sub_co_i32 s26, s26, s12
	s_mul_i32 s7, s6, s18
	s_cmp_lt_i32 s23, s26
	s_cbranch_scc1 .LBB6_18
; %bb.1:
	v_mad_u32 v3, s18, s23, v4
	v_cmp_gt_i32_e64 s1, s18, v4
	v_mov_b32_e32 v5, 0
	s_cmp_lg_u32 s14, 0
	s_mul_i32 s29, s22, s18
	s_cselect_b32 s27, -1, 0
	s_and_b32 s1, vcc_lo, s1
	s_mul_i32 s30, s18, s18
	s_lshl_b32 s31, s18, 2
	v_mul_lo_u32 v3, s18, v3
	s_branch .LBB6_3
.LBB6_2:                                ;   in Loop: Header=BB6_3 Depth=1
                                        ; implicit-def: $vgpr3
	s_cbranch_execnz .LBB6_19
.LBB6_3:                                ; =>This Loop Header: Depth=1
                                        ;     Child Loop BB6_7 Depth 2
                                        ;     Child Loop BB6_11 Depth 2
                                        ;       Child Loop BB6_13 Depth 3
	s_wait_xcnt 0x0
	v_mov_b32_e32 v6, s23
	global_load_b32 v6, v6, s[10:11] scale_offset
	s_wait_loadcnt 0x0
	v_readfirstlane_b32 s8, v6
	s_sub_co_i32 s28, s8, s12
	s_delay_alu instid0(SALU_CYCLE_1)
	s_cmp_le_i32 s28, s6
	s_cbranch_scc1 .LBB6_2
; %bb.4:                                ;   in Loop: Header=BB6_3 Depth=1
	s_wait_xcnt 0x0
	s_and_saveexec_b32 s33, s0
	s_cbranch_execz .LBB6_8
; %bb.5:                                ;   in Loop: Header=BB6_3 Depth=1
	s_add_co_i32 s8, s28, s15
	s_delay_alu instid0(SALU_CYCLE_1)
	v_mov_b32_e32 v6, s8
	global_load_b32 v6, v6, s[4:5] scale_offset scope:SCOPE_DEV
	s_wait_loadcnt 0x0
	v_cmp_ne_u32_e32 vcc_lo, 0, v6
	s_cbranch_vccnz .LBB6_8
; %bb.6:                                ;   in Loop: Header=BB6_3 Depth=1
	s_ashr_i32 s9, s8, 31
	s_delay_alu instid0(SALU_CYCLE_1) | instskip(NEXT) | instid1(SALU_CYCLE_1)
	s_lshl_b64 s[8:9], s[8:9], 2
	s_add_nc_u64 s[8:9], s[4:5], s[8:9]
.LBB6_7:                                ;   Parent Loop BB6_3 Depth=1
                                        ; =>  This Inner Loop Header: Depth=2
	global_load_b32 v6, v5, s[8:9] scope:SCOPE_DEV
	s_wait_loadcnt 0x0
	v_cmp_eq_u32_e32 vcc_lo, 0, v6
	s_cbranch_vccnz .LBB6_7
.LBB6_8:                                ;   in Loop: Header=BB6_3 Depth=1
	s_wait_xcnt 0x0
	s_or_b32 exec_lo, exec_lo, s33
	global_wb scope:SCOPE_DEV
	s_wait_storecnt 0x0
	global_inv scope:SCOPE_DEV
	s_wait_loadcnt 0x0
	s_barrier_signal -1
	s_barrier_wait -1
	s_and_saveexec_b32 s8, s1
	s_cbranch_execz .LBB6_17
; %bb.9:                                ;   in Loop: Header=BB6_3 Depth=1
	v_mad_u32 v6, s29, s28, v1
	v_dual_mov_b32 v7, v3 :: v_dual_mov_b32 v8, v4
	s_mul_i32 s9, s23, s18
	s_mov_b32 s33, 0
	s_branch .LBB6_11
.LBB6_10:                               ;   in Loop: Header=BB6_11 Depth=2
	v_dual_add_nc_u32 v10, s7, v8 :: v_dual_add_nc_u32 v8, 4, v8
	v_add_nc_u32_e32 v7, s31, v7
	s_delay_alu instid0(VALU_DEP_2) | instskip(NEXT) | instid1(VALU_DEP_3)
	v_mad_u32 v10, v10, s22, v1
	v_cmp_le_i32_e32 vcc_lo, s18, v8
	s_or_b32 s33, vcc_lo, s33
	global_load_b32 v11, v10, s[20:21] scale_offset
	s_wait_loadcnt 0x0
	v_sub_f32_e32 v9, v11, v9
	global_store_b32 v10, v9, s[20:21] scale_offset
	s_wait_xcnt 0x0
	s_and_not1_b32 exec_lo, exec_lo, s33
	s_cbranch_execz .LBB6_17
.LBB6_11:                               ;   Parent Loop BB6_3 Depth=1
                                        ; =>  This Loop Header: Depth=2
                                        ;       Child Loop BB6_13 Depth 3
	s_delay_alu instid0(VALU_DEP_2)
	v_dual_mov_b32 v9, 0 :: v_dual_mov_b32 v10, v6
	s_mov_b32 s34, 0
	s_branch .LBB6_13
.LBB6_12:                               ;   in Loop: Header=BB6_13 Depth=3
	global_load_b32 v12, v11, s[16:17] scale_offset
	global_load_b32 v13, v10, s[20:21] scale_offset
	s_add_co_i32 s34, s34, 1
	s_wait_xcnt 0x0
	v_add_nc_u32_e32 v10, s22, v10
	s_cmp_eq_u32 s18, s34
	s_wait_loadcnt 0x0
	v_fmac_f32_e32 v9, v12, v13
	s_cbranch_scc1 .LBB6_10
.LBB6_13:                               ;   Parent Loop BB6_3 Depth=1
                                        ;     Parent Loop BB6_11 Depth=2
                                        ; =>    This Inner Loop Header: Depth=3
	s_and_b32 vcc_lo, exec_lo, s27
	s_cbranch_vccz .LBB6_15
; %bb.14:                               ;   in Loop: Header=BB6_13 Depth=3
	s_add_co_i32 s35, s34, s9
	s_delay_alu instid0(SALU_CYCLE_1)
	v_mad_u32 v11, s35, s18, v8
	s_cbranch_execnz .LBB6_12
	s_branch .LBB6_16
.LBB6_15:                               ;   in Loop: Header=BB6_13 Depth=3
                                        ; implicit-def: $vgpr11
.LBB6_16:                               ;   in Loop: Header=BB6_13 Depth=3
	v_add_nc_u32_e32 v11, s34, v7
	s_branch .LBB6_12
.LBB6_17:                               ;   in Loop: Header=BB6_3 Depth=1
	s_or_b32 exec_lo, exec_lo, s8
	s_add_co_i32 s9, s23, -1
	s_cmp_le_i32 s23, s26
	v_subrev_nc_u32_e32 v3, s30, v3
	s_cselect_b32 s8, -1, 0
	s_mov_b32 s23, s9
	s_and_b32 vcc_lo, exec_lo, s8
	s_cbranch_vccz .LBB6_3
	s_branch .LBB6_19
.LBB6_18:
	s_mov_b32 s28, s24
.LBB6_19:
	s_cmp_lt_i32 s6, s24
	v_cmp_gt_i32_e32 vcc_lo, s25, v1
	s_cselect_b32 s0, -1, 0
	s_cmp_eq_u32 s6, s28
	s_cselect_b32 s1, -1, 0
	s_delay_alu instid0(SALU_CYCLE_1) | instskip(SKIP_2) | instid1(SALU_CYCLE_1)
	s_and_b32 s1, vcc_lo, s1
	s_cmp_gt_i32 s18, 0
	s_cselect_b32 s8, -1, 0
	s_and_b32 s1, s1, s8
	s_mov_b32 s8, 0
	s_and_b32 s9, s1, s0
	s_wait_xcnt 0x0
	s_and_saveexec_b32 s1, s9
	s_cbranch_execz .LBB6_35
; %bb.20:
	v_add_nc_u32_e32 v3, s7, v4
	s_cmp_eq_u32 s13, 0
	s_mov_b32 s10, 0
	s_cselect_b32 s8, -1, 0
	s_cmp_lg_u32 s14, 0
	v_mul_lo_u32 v3, s22, v3
	s_cselect_b32 s9, -1, 0
	s_add_co_i32 s11, s23, 1
	s_delay_alu instid0(SALU_CYCLE_1) | instskip(SKIP_4) | instid1(VALU_DEP_1)
	s_mul_i32 s13, s18, s11
	s_mul_i32 s11, s23, s18
	s_add_co_i32 s14, s13, -1
	s_lshl_b32 s13, s22, 2
	s_mul_i32 s14, s18, s14
	v_add3_u32 v5, v2, v3, s19
	s_mov_b32 s19, s18
	v_mov_b32_e32 v7, 1.0
	s_and_not1_b32 vcc_lo, exec_lo, s8
	s_add_co_i32 s23, s19, -1
	s_cbranch_vccnz .LBB6_22
.LBB6_21:
	s_add_co_i32 s24, s23, s11
	s_delay_alu instid0(SALU_CYCLE_1) | instskip(NEXT) | instid1(SALU_CYCLE_1)
	s_mul_i32 s24, s24, s18
	s_add_co_i32 s24, s24, s23
	s_delay_alu instid0(SALU_CYCLE_1)
	v_mov_b32_e32 v2, s24
	global_load_b32 v7, v2, s[16:17] scale_offset
.LBB6_22:                               ; =>This Loop Header: Depth=1
                                        ;     Child Loop BB6_27 Depth 2
	s_add_co_i32 s24, s23, s7
	s_wait_loadcnt 0x0
	v_cmp_eq_f32_e32 vcc_lo, 0, v7
	s_wait_xcnt 0x0
	v_mad_u32 v2, s24, s22, v1
	global_load_b32 v6, v2, s[20:21] scale_offset
	s_cbranch_vccnz .LBB6_24
; %bb.23:                               ;   in Loop: Header=BB6_22 Depth=1
	s_wait_loadcnt 0x0
	v_div_scale_f32 v3, null, v7, v7, v6
	s_delay_alu instid0(VALU_DEP_1) | instskip(SKIP_1) | instid1(TRANS32_DEP_1)
	v_rcp_f32_e32 v8, v3
	v_nop
	v_fma_f32 v9, -v3, v8, 1.0
	s_delay_alu instid0(VALU_DEP_1) | instskip(SKIP_1) | instid1(VALU_DEP_1)
	v_fmac_f32_e32 v8, v9, v8
	v_div_scale_f32 v9, vcc_lo, v6, v7, v6
	v_mul_f32_e32 v10, v9, v8
	s_delay_alu instid0(VALU_DEP_1) | instskip(NEXT) | instid1(VALU_DEP_1)
	v_fma_f32 v11, -v3, v10, v9
	v_fmac_f32_e32 v10, v11, v8
	s_delay_alu instid0(VALU_DEP_1) | instskip(SKIP_1) | instid1(VALU_DEP_2)
	v_fma_f32 v9, -v3, v10, v9
	v_ashrrev_i32_e32 v3, 31, v2
	v_div_fmas_f32 v8, v9, v8, v10
	s_wait_xcnt 0x0
	s_delay_alu instid0(VALU_DEP_2) | instskip(NEXT) | instid1(VALU_DEP_2)
	v_lshl_add_u64 v[2:3], v[2:3], 2, s[20:21]
	v_div_fixup_f32 v6, v8, v7, v6
	global_store_b32 v[2:3], v6, off
	s_mov_b32 s24, exec_lo
	s_wait_xcnt 0x0
	v_cmpx_gt_i32_e64 s23, v4
	s_cbranch_execnz .LBB6_25
	s_branch .LBB6_31
.LBB6_24:                               ;   in Loop: Header=BB6_22 Depth=1
	s_mov_b32 s10, -1
	s_mov_b32 s24, exec_lo
	s_wait_xcnt 0x0
	v_cmpx_gt_i32_e64 s23, v4
	s_cbranch_execz .LBB6_31
.LBB6_25:                               ;   in Loop: Header=BB6_22 Depth=1
	v_dual_mov_b32 v2, v5 :: v_dual_mov_b32 v3, v4
	s_mov_b32 s25, 0
	s_branch .LBB6_27
.LBB6_26:                               ;   in Loop: Header=BB6_27 Depth=2
	global_load_b32 v8, v7, s[16:17] scale_offset
	global_load_b32 v9, v2, s[20:21] scale_offset
	s_wait_loadcnt 0x0
	s_wait_xcnt 0x1
	v_dual_add_nc_u32 v3, 4, v3 :: v_dual_fma_f32 v7, -v6, v8, v9
	s_delay_alu instid0(VALU_DEP_1) | instskip(SKIP_4) | instid1(SALU_CYCLE_1)
	v_cmp_le_i32_e32 vcc_lo, s23, v3
	global_store_b32 v2, v7, s[20:21] scale_offset
	s_wait_xcnt 0x0
	v_add_nc_u32_e32 v2, s13, v2
	s_or_b32 s25, vcc_lo, s25
	s_and_not1_b32 exec_lo, exec_lo, s25
	s_cbranch_execz .LBB6_31
.LBB6_27:                               ;   Parent Loop BB6_22 Depth=1
                                        ; =>  This Inner Loop Header: Depth=2
	s_and_b32 vcc_lo, exec_lo, s9
	s_cbranch_vccz .LBB6_29
; %bb.28:                               ;   in Loop: Header=BB6_27 Depth=2
	v_add_nc_u32_e32 v7, s14, v3
	s_cbranch_execnz .LBB6_26
	s_branch .LBB6_30
.LBB6_29:                               ;   in Loop: Header=BB6_27 Depth=2
                                        ; implicit-def: $vgpr7
.LBB6_30:                               ;   in Loop: Header=BB6_27 Depth=2
	v_add_nc_u32_e32 v7, s11, v3
	s_delay_alu instid0(VALU_DEP_1)
	v_mad_u32 v7, v7, s18, s23
	s_branch .LBB6_26
.LBB6_31:                               ;   in Loop: Header=BB6_22 Depth=1
	s_or_b32 exec_lo, exec_lo, s24
; %bb.32:                               ;   in Loop: Header=BB6_22 Depth=1
	s_sub_co_i32 s14, s14, s18
	s_cmp_lt_i32 s19, 2
	s_cbranch_scc1 .LBB6_34
; %bb.33:                               ;   in Loop: Header=BB6_22 Depth=1
	s_mov_b32 s19, s23
	v_mov_b32_e32 v7, 1.0
	s_and_not1_b32 vcc_lo, exec_lo, s8
	s_add_co_i32 s23, s19, -1
	s_cbranch_vccnz .LBB6_22
	s_branch .LBB6_21
.LBB6_34:
	s_and_b32 s8, s10, exec_lo
.LBB6_35:
	s_or_b32 exec_lo, exec_lo, s1
	v_cmp_eq_u32_e32 vcc_lo, 0, v0
	global_wb scope:SCOPE_DEV
	s_wait_loadcnt 0x0
	s_wait_storecnt 0x0
	global_inv scope:SCOPE_DEV
	s_wait_loadcnt 0x0
	s_barrier_signal -1
	s_barrier_wait -1
	s_and_b32 s0, vcc_lo, s0
	s_delay_alu instid0(SALU_CYCLE_1)
	s_and_saveexec_b32 s1, s0
	s_cbranch_execz .LBB6_39
; %bb.36:
	s_add_co_i32 s0, s6, s15
	s_delay_alu instid0(SALU_CYCLE_1)
	v_dual_mov_b32 v0, 1 :: v_dual_mov_b32 v1, s0
	global_store_b32 v1, v0, s[4:5] scale_offset scope:SCOPE_DEV
	s_wait_xcnt 0x0
	s_and_b32 exec_lo, exec_lo, s8
	s_cbranch_execz .LBB6_39
; %bb.37:
	v_mbcnt_lo_u32_b32 v0, exec_lo, 0
	s_delay_alu instid0(VALU_DEP_1)
	v_cmp_eq_u32_e32 vcc_lo, 0, v0
	s_and_b32 exec_lo, exec_lo, vcc_lo
	s_cbranch_execz .LBB6_39
; %bb.38:
	s_add_co_i32 s0, s6, s12
	s_delay_alu instid0(SALU_CYCLE_1)
	v_dual_mov_b32 v0, 0 :: v_dual_mov_b32 v1, s0
	global_atomic_min_i32 v0, v1, s[2:3] scope:SCOPE_DEV
.LBB6_39:
	s_endpgm
	.section	.rodata,"a",@progbits
	.p2align	6, 0x0
	.amdhsa_kernel _ZN9rocsparseL24bsrsm_upper_large_kernelILj64ELj16ELb0EfEEviiPKiS2_PKT2_iPS3_iPiS2_S7_21rocsparse_index_base_20rocsparse_diag_type_20rocsparse_direction_
		.amdhsa_group_segment_fixed_size 0
		.amdhsa_private_segment_fixed_size 0
		.amdhsa_kernarg_size 92
		.amdhsa_user_sgpr_count 2
		.amdhsa_user_sgpr_dispatch_ptr 0
		.amdhsa_user_sgpr_queue_ptr 0
		.amdhsa_user_sgpr_kernarg_segment_ptr 1
		.amdhsa_user_sgpr_dispatch_id 0
		.amdhsa_user_sgpr_kernarg_preload_length 0
		.amdhsa_user_sgpr_kernarg_preload_offset 0
		.amdhsa_user_sgpr_private_segment_size 0
		.amdhsa_wavefront_size32 1
		.amdhsa_uses_dynamic_stack 0
		.amdhsa_enable_private_segment 0
		.amdhsa_system_sgpr_workgroup_id_x 1
		.amdhsa_system_sgpr_workgroup_id_y 0
		.amdhsa_system_sgpr_workgroup_id_z 0
		.amdhsa_system_sgpr_workgroup_info 0
		.amdhsa_system_vgpr_workitem_id 0
		.amdhsa_next_free_vgpr 14
		.amdhsa_next_free_sgpr 36
		.amdhsa_named_barrier_count 0
		.amdhsa_reserve_vcc 1
		.amdhsa_float_round_mode_32 0
		.amdhsa_float_round_mode_16_64 0
		.amdhsa_float_denorm_mode_32 3
		.amdhsa_float_denorm_mode_16_64 3
		.amdhsa_fp16_overflow 0
		.amdhsa_memory_ordered 1
		.amdhsa_forward_progress 1
		.amdhsa_inst_pref_size 13
		.amdhsa_round_robin_scheduling 0
		.amdhsa_exception_fp_ieee_invalid_op 0
		.amdhsa_exception_fp_denorm_src 0
		.amdhsa_exception_fp_ieee_div_zero 0
		.amdhsa_exception_fp_ieee_overflow 0
		.amdhsa_exception_fp_ieee_underflow 0
		.amdhsa_exception_fp_ieee_inexact 0
		.amdhsa_exception_int_div_zero 0
	.end_amdhsa_kernel
	.section	.text._ZN9rocsparseL24bsrsm_upper_large_kernelILj64ELj16ELb0EfEEviiPKiS2_PKT2_iPS3_iPiS2_S7_21rocsparse_index_base_20rocsparse_diag_type_20rocsparse_direction_,"axG",@progbits,_ZN9rocsparseL24bsrsm_upper_large_kernelILj64ELj16ELb0EfEEviiPKiS2_PKT2_iPS3_iPiS2_S7_21rocsparse_index_base_20rocsparse_diag_type_20rocsparse_direction_,comdat
.Lfunc_end6:
	.size	_ZN9rocsparseL24bsrsm_upper_large_kernelILj64ELj16ELb0EfEEviiPKiS2_PKT2_iPS3_iPiS2_S7_21rocsparse_index_base_20rocsparse_diag_type_20rocsparse_direction_, .Lfunc_end6-_ZN9rocsparseL24bsrsm_upper_large_kernelILj64ELj16ELb0EfEEviiPKiS2_PKT2_iPS3_iPiS2_S7_21rocsparse_index_base_20rocsparse_diag_type_20rocsparse_direction_
                                        ; -- End function
	.set _ZN9rocsparseL24bsrsm_upper_large_kernelILj64ELj16ELb0EfEEviiPKiS2_PKT2_iPS3_iPiS2_S7_21rocsparse_index_base_20rocsparse_diag_type_20rocsparse_direction_.num_vgpr, 14
	.set _ZN9rocsparseL24bsrsm_upper_large_kernelILj64ELj16ELb0EfEEviiPKiS2_PKT2_iPS3_iPiS2_S7_21rocsparse_index_base_20rocsparse_diag_type_20rocsparse_direction_.num_agpr, 0
	.set _ZN9rocsparseL24bsrsm_upper_large_kernelILj64ELj16ELb0EfEEviiPKiS2_PKT2_iPS3_iPiS2_S7_21rocsparse_index_base_20rocsparse_diag_type_20rocsparse_direction_.numbered_sgpr, 36
	.set _ZN9rocsparseL24bsrsm_upper_large_kernelILj64ELj16ELb0EfEEviiPKiS2_PKT2_iPS3_iPiS2_S7_21rocsparse_index_base_20rocsparse_diag_type_20rocsparse_direction_.num_named_barrier, 0
	.set _ZN9rocsparseL24bsrsm_upper_large_kernelILj64ELj16ELb0EfEEviiPKiS2_PKT2_iPS3_iPiS2_S7_21rocsparse_index_base_20rocsparse_diag_type_20rocsparse_direction_.private_seg_size, 0
	.set _ZN9rocsparseL24bsrsm_upper_large_kernelILj64ELj16ELb0EfEEviiPKiS2_PKT2_iPS3_iPiS2_S7_21rocsparse_index_base_20rocsparse_diag_type_20rocsparse_direction_.uses_vcc, 1
	.set _ZN9rocsparseL24bsrsm_upper_large_kernelILj64ELj16ELb0EfEEviiPKiS2_PKT2_iPS3_iPiS2_S7_21rocsparse_index_base_20rocsparse_diag_type_20rocsparse_direction_.uses_flat_scratch, 0
	.set _ZN9rocsparseL24bsrsm_upper_large_kernelILj64ELj16ELb0EfEEviiPKiS2_PKT2_iPS3_iPiS2_S7_21rocsparse_index_base_20rocsparse_diag_type_20rocsparse_direction_.has_dyn_sized_stack, 0
	.set _ZN9rocsparseL24bsrsm_upper_large_kernelILj64ELj16ELb0EfEEviiPKiS2_PKT2_iPS3_iPiS2_S7_21rocsparse_index_base_20rocsparse_diag_type_20rocsparse_direction_.has_recursion, 0
	.set _ZN9rocsparseL24bsrsm_upper_large_kernelILj64ELj16ELb0EfEEviiPKiS2_PKT2_iPS3_iPiS2_S7_21rocsparse_index_base_20rocsparse_diag_type_20rocsparse_direction_.has_indirect_call, 0
	.section	.AMDGPU.csdata,"",@progbits
; Kernel info:
; codeLenInByte = 1596
; TotalNumSgprs: 38
; NumVgprs: 14
; ScratchSize: 0
; MemoryBound: 0
; FloatMode: 240
; IeeeMode: 1
; LDSByteSize: 0 bytes/workgroup (compile time only)
; SGPRBlocks: 0
; VGPRBlocks: 0
; NumSGPRsForWavesPerEU: 38
; NumVGPRsForWavesPerEU: 14
; NamedBarCnt: 0
; Occupancy: 16
; WaveLimiterHint : 1
; COMPUTE_PGM_RSRC2:SCRATCH_EN: 0
; COMPUTE_PGM_RSRC2:USER_SGPR: 2
; COMPUTE_PGM_RSRC2:TRAP_HANDLER: 0
; COMPUTE_PGM_RSRC2:TGID_X_EN: 1
; COMPUTE_PGM_RSRC2:TGID_Y_EN: 0
; COMPUTE_PGM_RSRC2:TGID_Z_EN: 0
; COMPUTE_PGM_RSRC2:TIDIG_COMP_CNT: 0
	.section	.text._ZN9rocsparseL24bsrsm_lower_large_kernelILj64ELj16ELb0EfEEviiPKiS2_PKT2_iPS3_iPiS2_S7_21rocsparse_index_base_20rocsparse_diag_type_20rocsparse_direction_,"axG",@progbits,_ZN9rocsparseL24bsrsm_lower_large_kernelILj64ELj16ELb0EfEEviiPKiS2_PKT2_iPS3_iPiS2_S7_21rocsparse_index_base_20rocsparse_diag_type_20rocsparse_direction_,comdat
	.globl	_ZN9rocsparseL24bsrsm_lower_large_kernelILj64ELj16ELb0EfEEviiPKiS2_PKT2_iPS3_iPiS2_S7_21rocsparse_index_base_20rocsparse_diag_type_20rocsparse_direction_ ; -- Begin function _ZN9rocsparseL24bsrsm_lower_large_kernelILj64ELj16ELb0EfEEviiPKiS2_PKT2_iPS3_iPiS2_S7_21rocsparse_index_base_20rocsparse_diag_type_20rocsparse_direction_
	.p2align	8
	.type	_ZN9rocsparseL24bsrsm_lower_large_kernelILj64ELj16ELb0EfEEviiPKiS2_PKT2_iPS3_iPiS2_S7_21rocsparse_index_base_20rocsparse_diag_type_20rocsparse_direction_,@function
_ZN9rocsparseL24bsrsm_lower_large_kernelILj64ELj16ELb0EfEEviiPKiS2_PKT2_iPS3_iPiS2_S7_21rocsparse_index_base_20rocsparse_diag_type_20rocsparse_direction_: ; @_ZN9rocsparseL24bsrsm_lower_large_kernelILj64ELj16ELb0EfEEviiPKiS2_PKT2_iPS3_iPiS2_S7_21rocsparse_index_base_20rocsparse_diag_type_20rocsparse_direction_
; %bb.0:
	s_clause 0x1
	s_load_b64 s[24:25], s[0:1], 0x0
	s_load_b128 s[8:11], s[0:1], 0x8
	s_bfe_u32 s4, ttmp6, 0x4000c
	s_and_b32 s3, ttmp6, 15
	s_add_co_i32 s4, s4, 1
	s_getreg_b32 s5, hwreg(HW_REG_IB_STS2, 6, 4)
	s_mul_i32 s4, ttmp9, s4
	v_dual_lshrrev_b32 v2, 2, v0 :: v_dual_bitop2_b32 v3, 3, v0 bitop3:0x40
	s_add_co_i32 s3, s3, s4
	s_wait_kmcnt 0x0
	s_cvt_f32_u32 s2, s24
	s_sub_co_i32 s6, 0, s24
	s_delay_alu instid0(SALU_CYCLE_2) | instskip(SKIP_1) | instid1(TRANS32_DEP_1)
	v_rcp_iflag_f32_e32 v1, s2
	v_nop
	v_readfirstlane_b32 s2, v1
	s_mul_f32 s2, s2, 0x4f7ffffe
	s_delay_alu instid0(SALU_CYCLE_3) | instskip(NEXT) | instid1(SALU_CYCLE_3)
	s_cvt_u32_f32 s2, s2
	s_mul_i32 s6, s6, s2
	s_delay_alu instid0(SALU_CYCLE_1) | instskip(NEXT) | instid1(SALU_CYCLE_1)
	s_mul_hi_u32 s6, s2, s6
	s_add_co_i32 s2, s2, s6
	s_cmp_eq_u32 s5, 0
	s_load_b128 s[4:7], s[0:1], 0x38
	s_cselect_b32 s3, ttmp9, s3
	s_delay_alu instid0(SALU_CYCLE_1) | instskip(NEXT) | instid1(SALU_CYCLE_1)
	s_mul_hi_u32 s2, s3, s2
	s_mul_i32 s12, s2, s24
	s_add_co_i32 s13, s2, 1
	s_sub_co_i32 s12, s3, s12
	s_delay_alu instid0(SALU_CYCLE_1)
	s_sub_co_i32 s14, s12, s24
	s_cmp_ge_u32 s12, s24
	s_cselect_b32 s2, s13, s2
	s_cselect_b32 s12, s14, s12
	s_add_co_i32 s13, s2, 1
	s_cmp_ge_u32 s12, s24
	s_cselect_b32 s19, s13, s2
	s_delay_alu instid0(SALU_CYCLE_1) | instskip(SKIP_4) | instid1(SALU_CYCLE_1)
	s_mul_i32 s15, s19, s24
	s_lshl_b32 s19, s19, 4
	s_sub_co_i32 s2, s3, s15
	v_or_b32_e32 v1, s19, v2
	s_ashr_i32 s3, s2, 31
	s_lshl_b64 s[12:13], s[2:3], 2
	s_load_b64 s[2:3], s[0:1], 0x48
	s_wait_kmcnt 0x0
	s_add_nc_u64 s[6:7], s[6:7], s[12:13]
	v_cmp_gt_i32_e32 vcc_lo, s25, v1
	s_load_b32 s6, s[6:7], 0x0
	s_wait_kmcnt 0x0
	s_ashr_i32 s7, s6, 31
	s_delay_alu instid0(SALU_CYCLE_1) | instskip(NEXT) | instid1(SALU_CYCLE_1)
	s_lshl_b64 s[12:13], s[6:7], 2
	s_add_nc_u64 s[26:27], s[8:9], s[12:13]
	s_load_b96 s[12:14], s[0:1], 0x50
	s_load_b64 s[8:9], s[26:27], 0x0
	s_clause 0x1
	s_load_b96 s[16:18], s[0:1], 0x18
	s_load_b96 s[20:22], s[0:1], 0x28
	s_wait_xcnt 0x0
	v_cmp_eq_u32_e64 s0, 0, v0
	s_wait_kmcnt 0x0
	s_sub_co_i32 s23, s8, s12
	s_cmp_ge_i32 s8, s9
	s_mul_i32 s7, s6, s18
	s_mul_i32 s26, s18, s18
	s_cbranch_scc1 .LBB7_18
; %bb.1:
	v_mad_u32 v4, s18, s23, v3
	v_cmp_gt_i32_e64 s1, s18, v3
	s_sub_co_i32 s27, s9, s12
	v_mov_b32_e32 v5, 0
	s_cmp_lg_u32 s14, 0
	s_mul_i32 s30, s22, s18
	s_cselect_b32 s28, -1, 0
	s_and_b32 s29, vcc_lo, s1
	s_lshl_b32 s31, s18, 2
	v_mul_lo_u32 v4, s18, v4
	s_branch .LBB7_3
.LBB7_2:                                ;   in Loop: Header=BB7_3 Depth=1
                                        ; implicit-def: $vgpr4
	s_and_b32 vcc_lo, exec_lo, s8
	s_cbranch_vccnz .LBB7_19
.LBB7_3:                                ; =>This Loop Header: Depth=1
                                        ;     Child Loop BB7_7 Depth 2
                                        ;     Child Loop BB7_11 Depth 2
                                        ;       Child Loop BB7_13 Depth 3
	s_wait_xcnt 0x0
	v_mov_b32_e32 v6, s23
	s_mov_b32 s8, -1
	global_load_b32 v6, v6, s[10:11] scale_offset
	s_wait_loadcnt 0x0
	v_readfirstlane_b32 s1, v6
	s_sub_co_i32 s1, s1, s12
	s_delay_alu instid0(SALU_CYCLE_1)
	s_cmp_ge_i32 s1, s6
	s_cbranch_scc1 .LBB7_2
; %bb.4:                                ;   in Loop: Header=BB7_3 Depth=1
	s_wait_xcnt 0x0
	s_and_saveexec_b32 s33, s0
	s_cbranch_execz .LBB7_8
; %bb.5:                                ;   in Loop: Header=BB7_3 Depth=1
	s_add_co_i32 s8, s1, s15
	s_delay_alu instid0(SALU_CYCLE_1)
	v_mov_b32_e32 v6, s8
	global_load_b32 v6, v6, s[4:5] scale_offset scope:SCOPE_DEV
	s_wait_loadcnt 0x0
	v_cmp_ne_u32_e32 vcc_lo, 0, v6
	s_cbranch_vccnz .LBB7_8
; %bb.6:                                ;   in Loop: Header=BB7_3 Depth=1
	s_ashr_i32 s9, s8, 31
	s_delay_alu instid0(SALU_CYCLE_1) | instskip(NEXT) | instid1(SALU_CYCLE_1)
	s_lshl_b64 s[8:9], s[8:9], 2
	s_add_nc_u64 s[8:9], s[4:5], s[8:9]
.LBB7_7:                                ;   Parent Loop BB7_3 Depth=1
                                        ; =>  This Inner Loop Header: Depth=2
	global_load_b32 v6, v5, s[8:9] scope:SCOPE_DEV
	s_wait_loadcnt 0x0
	v_cmp_eq_u32_e32 vcc_lo, 0, v6
	s_cbranch_vccnz .LBB7_7
.LBB7_8:                                ;   in Loop: Header=BB7_3 Depth=1
	s_wait_xcnt 0x0
	s_or_b32 exec_lo, exec_lo, s33
	global_wb scope:SCOPE_DEV
	s_wait_storecnt 0x0
	global_inv scope:SCOPE_DEV
	s_wait_loadcnt 0x0
	s_barrier_signal -1
	s_barrier_wait -1
	s_and_saveexec_b32 s8, s29
	s_cbranch_execz .LBB7_17
; %bb.9:                                ;   in Loop: Header=BB7_3 Depth=1
	v_mad_u32 v6, s30, s1, v1
	v_dual_mov_b32 v7, v4 :: v_dual_mov_b32 v8, v3
	s_mul_i32 s9, s23, s18
	s_mov_b32 s33, 0
	s_branch .LBB7_11
.LBB7_10:                               ;   in Loop: Header=BB7_11 Depth=2
	v_dual_add_nc_u32 v10, s7, v8 :: v_dual_add_nc_u32 v8, 4, v8
	v_add_nc_u32_e32 v7, s31, v7
	s_delay_alu instid0(VALU_DEP_2) | instskip(NEXT) | instid1(VALU_DEP_3)
	v_mad_u32 v10, v10, s22, v1
	v_cmp_le_i32_e32 vcc_lo, s18, v8
	s_or_b32 s33, vcc_lo, s33
	global_load_b32 v11, v10, s[20:21] scale_offset
	s_wait_loadcnt 0x0
	v_sub_f32_e32 v9, v11, v9
	global_store_b32 v10, v9, s[20:21] scale_offset
	s_wait_xcnt 0x0
	s_and_not1_b32 exec_lo, exec_lo, s33
	s_cbranch_execz .LBB7_17
.LBB7_11:                               ;   Parent Loop BB7_3 Depth=1
                                        ; =>  This Loop Header: Depth=2
                                        ;       Child Loop BB7_13 Depth 3
	s_delay_alu instid0(VALU_DEP_2)
	v_dual_mov_b32 v9, 0 :: v_dual_mov_b32 v10, v6
	s_mov_b32 s34, 0
	s_branch .LBB7_13
.LBB7_12:                               ;   in Loop: Header=BB7_13 Depth=3
	global_load_b32 v12, v11, s[16:17] scale_offset
	global_load_b32 v13, v10, s[20:21] scale_offset
	s_add_co_i32 s34, s34, 1
	s_wait_xcnt 0x0
	v_add_nc_u32_e32 v10, s22, v10
	s_cmp_eq_u32 s18, s34
	s_wait_loadcnt 0x0
	v_fmac_f32_e32 v9, v12, v13
	s_cbranch_scc1 .LBB7_10
.LBB7_13:                               ;   Parent Loop BB7_3 Depth=1
                                        ;     Parent Loop BB7_11 Depth=2
                                        ; =>    This Inner Loop Header: Depth=3
	s_and_b32 vcc_lo, exec_lo, s28
	s_cbranch_vccz .LBB7_15
; %bb.14:                               ;   in Loop: Header=BB7_13 Depth=3
	s_add_co_i32 s35, s34, s9
	s_delay_alu instid0(SALU_CYCLE_1)
	v_mad_u32 v11, s35, s18, v8
	s_cbranch_execnz .LBB7_12
	s_branch .LBB7_16
.LBB7_15:                               ;   in Loop: Header=BB7_13 Depth=3
                                        ; implicit-def: $vgpr11
.LBB7_16:                               ;   in Loop: Header=BB7_13 Depth=3
	v_add_nc_u32_e32 v11, s34, v7
	s_branch .LBB7_12
.LBB7_17:                               ;   in Loop: Header=BB7_3 Depth=1
	s_or_b32 exec_lo, exec_lo, s8
	s_add_co_i32 s23, s23, 1
	v_add_nc_u32_e32 v4, s26, v4
	s_cmp_ge_i32 s23, s27
	s_cselect_b32 s8, -1, 0
	s_delay_alu instid0(SALU_CYCLE_1)
	s_and_b32 vcc_lo, exec_lo, s8
	s_cbranch_vccz .LBB7_3
	s_branch .LBB7_19
.LBB7_18:
	s_mov_b32 s1, s24
.LBB7_19:
	s_cmp_lt_i32 s6, s24
	v_cmp_gt_i32_e32 vcc_lo, s25, v1
	s_cselect_b32 s0, -1, 0
	s_cmp_eq_u32 s6, s1
	s_cselect_b32 s1, -1, 0
	s_delay_alu instid0(SALU_CYCLE_1) | instskip(SKIP_2) | instid1(SALU_CYCLE_1)
	s_and_b32 s1, vcc_lo, s1
	s_cmp_gt_i32 s18, 0
	s_cselect_b32 s8, -1, 0
	s_and_b32 s1, s1, s8
	s_mov_b32 s8, 0
	s_and_b32 s9, s1, s0
	s_wait_xcnt 0x0
	s_and_saveexec_b32 s1, s9
	s_cbranch_execz .LBB7_34
; %bb.20:
	v_add_nc_u32_e32 v4, s7, v3
	s_cmp_eq_u32 s13, 0
	s_mul_i32 s10, s23, s18
	s_cselect_b32 s9, -1, 0
	s_cmp_lg_u32 s14, 0
	v_mad_u32 v5, s22, v4, s22
	v_add_nc_u32_e32 v4, 1, v3
	s_cselect_b32 s11, -1, 0
	s_lshl_b32 s13, s22, 2
	s_mul_i32 s14, s23, s26
	s_mov_b32 s23, 0
	s_delay_alu instid0(VALU_DEP_2)
	v_add3_u32 v5, v2, v5, s19
	s_add_co_i32 s19, s18, 1
	s_branch .LBB7_22
.LBB7_21:                               ;   in Loop: Header=BB7_22 Depth=1
	s_or_b32 exec_lo, exec_lo, s24
	v_add_nc_u32_e32 v5, s22, v5
	s_add_co_i32 s8, s8, 1
	s_add_co_i32 s14, s14, s19
	s_cmp_eq_u32 s8, s18
	s_cbranch_scc1 .LBB7_33
.LBB7_22:                               ; =>This Loop Header: Depth=1
                                        ;     Child Loop BB7_29 Depth 2
	v_mov_b32_e32 v7, 1.0
	s_and_not1_b32 vcc_lo, exec_lo, s9
	s_cbranch_vccnz .LBB7_24
; %bb.23:                               ;   in Loop: Header=BB7_22 Depth=1
	s_add_co_i32 s24, s8, s10
	s_delay_alu instid0(SALU_CYCLE_1) | instskip(NEXT) | instid1(SALU_CYCLE_1)
	s_mul_i32 s24, s24, s18
	s_add_co_i32 s24, s24, s8
	s_delay_alu instid0(SALU_CYCLE_1)
	v_mov_b32_e32 v2, s24
	global_load_b32 v7, v2, s[16:17] scale_offset
.LBB7_24:                               ;   in Loop: Header=BB7_22 Depth=1
	s_add_co_i32 s24, s8, s7
	s_wait_loadcnt 0x0
	v_cmp_eq_f32_e32 vcc_lo, 0, v7
	s_wait_xcnt 0x0
	v_mad_u32 v2, s24, s22, v1
	global_load_b32 v6, v2, s[20:21] scale_offset
	s_cbranch_vccnz .LBB7_26
; %bb.25:                               ;   in Loop: Header=BB7_22 Depth=1
	s_wait_loadcnt 0x0
	v_div_scale_f32 v3, null, v7, v7, v6
	s_delay_alu instid0(VALU_DEP_1) | instskip(SKIP_1) | instid1(TRANS32_DEP_1)
	v_rcp_f32_e32 v8, v3
	v_nop
	v_fma_f32 v9, -v3, v8, 1.0
	s_delay_alu instid0(VALU_DEP_1) | instskip(SKIP_1) | instid1(VALU_DEP_1)
	v_fmac_f32_e32 v8, v9, v8
	v_div_scale_f32 v9, vcc_lo, v6, v7, v6
	v_mul_f32_e32 v10, v9, v8
	s_delay_alu instid0(VALU_DEP_1) | instskip(NEXT) | instid1(VALU_DEP_1)
	v_fma_f32 v11, -v3, v10, v9
	v_fmac_f32_e32 v10, v11, v8
	s_delay_alu instid0(VALU_DEP_1) | instskip(SKIP_1) | instid1(VALU_DEP_2)
	v_fma_f32 v9, -v3, v10, v9
	v_ashrrev_i32_e32 v3, 31, v2
	v_div_fmas_f32 v8, v9, v8, v10
	s_wait_xcnt 0x0
	s_delay_alu instid0(VALU_DEP_2) | instskip(NEXT) | instid1(VALU_DEP_2)
	v_lshl_add_u64 v[2:3], v[2:3], 2, s[20:21]
	v_div_fixup_f32 v6, v8, v7, v6
	global_store_b32 v[2:3], v6, off
	s_wait_xcnt 0x0
	v_add_nc_u32_e32 v2, s8, v4
	s_mov_b32 s24, exec_lo
	s_delay_alu instid0(VALU_DEP_1)
	v_cmpx_gt_i32_e64 s18, v2
	s_cbranch_execz .LBB7_21
	s_branch .LBB7_27
.LBB7_26:                               ;   in Loop: Header=BB7_22 Depth=1
	s_mov_b32 s23, -1
	s_wait_xcnt 0x0
	v_add_nc_u32_e32 v2, s8, v4
	s_mov_b32 s24, exec_lo
	s_delay_alu instid0(VALU_DEP_1)
	v_cmpx_gt_i32_e64 s18, v2
	s_cbranch_execz .LBB7_21
.LBB7_27:                               ;   in Loop: Header=BB7_22 Depth=1
	v_dual_mov_b32 v3, v5 :: v_dual_mov_b32 v7, v4
	s_mov_b32 s25, 0
	s_branch .LBB7_29
.LBB7_28:                               ;   in Loop: Header=BB7_29 Depth=2
	global_load_b32 v9, v8, s[16:17] scale_offset
	global_load_b32 v10, v3, s[20:21] scale_offset
	v_dual_add_nc_u32 v7, 4, v7 :: v_dual_add_nc_u32 v2, 4, v2
	s_wait_loadcnt 0x0
	s_wait_xcnt 0x1
	s_delay_alu instid0(VALU_DEP_1)
	v_dual_fma_f32 v9, -v6, v9, v10 :: v_dual_add_nc_u32 v8, s8, v7
	global_store_b32 v3, v9, s[20:21] scale_offset
	v_cmp_le_i32_e32 vcc_lo, s18, v8
	s_wait_xcnt 0x0
	v_add_nc_u32_e32 v3, s13, v3
	s_or_b32 s25, vcc_lo, s25
	s_delay_alu instid0(SALU_CYCLE_1)
	s_and_not1_b32 exec_lo, exec_lo, s25
	s_cbranch_execz .LBB7_21
.LBB7_29:                               ;   Parent Loop BB7_22 Depth=1
                                        ; =>  This Inner Loop Header: Depth=2
	s_and_b32 vcc_lo, exec_lo, s11
	s_cbranch_vccz .LBB7_31
; %bb.30:                               ;   in Loop: Header=BB7_29 Depth=2
	v_add_nc_u32_e32 v8, s14, v7
	s_cbranch_execnz .LBB7_28
	s_branch .LBB7_32
.LBB7_31:                               ;   in Loop: Header=BB7_29 Depth=2
                                        ; implicit-def: $vgpr8
.LBB7_32:                               ;   in Loop: Header=BB7_29 Depth=2
	v_add_nc_u32_e32 v8, s10, v2
	s_delay_alu instid0(VALU_DEP_1)
	v_mad_u32 v8, v8, s18, s8
	s_branch .LBB7_28
.LBB7_33:
	s_and_b32 s8, s23, exec_lo
.LBB7_34:
	s_or_b32 exec_lo, exec_lo, s1
	v_cmp_eq_u32_e32 vcc_lo, 0, v0
	global_wb scope:SCOPE_DEV
	s_wait_loadcnt 0x0
	s_wait_storecnt 0x0
	global_inv scope:SCOPE_DEV
	s_wait_loadcnt 0x0
	s_barrier_signal -1
	s_barrier_wait -1
	s_and_b32 s0, vcc_lo, s0
	s_delay_alu instid0(SALU_CYCLE_1)
	s_and_saveexec_b32 s1, s0
	s_cbranch_execz .LBB7_38
; %bb.35:
	s_add_co_i32 s0, s6, s15
	s_delay_alu instid0(SALU_CYCLE_1)
	v_dual_mov_b32 v0, 1 :: v_dual_mov_b32 v1, s0
	global_store_b32 v1, v0, s[4:5] scale_offset scope:SCOPE_DEV
	s_wait_xcnt 0x0
	s_and_b32 exec_lo, exec_lo, s8
	s_cbranch_execz .LBB7_38
; %bb.36:
	v_mbcnt_lo_u32_b32 v0, exec_lo, 0
	s_delay_alu instid0(VALU_DEP_1)
	v_cmp_eq_u32_e32 vcc_lo, 0, v0
	s_and_b32 exec_lo, exec_lo, vcc_lo
	s_cbranch_execz .LBB7_38
; %bb.37:
	s_add_co_i32 s0, s6, s12
	s_delay_alu instid0(SALU_CYCLE_1)
	v_dual_mov_b32 v0, 0 :: v_dual_mov_b32 v1, s0
	global_atomic_min_i32 v0, v1, s[2:3] scope:SCOPE_DEV
.LBB7_38:
	s_endpgm
	.section	.rodata,"a",@progbits
	.p2align	6, 0x0
	.amdhsa_kernel _ZN9rocsparseL24bsrsm_lower_large_kernelILj64ELj16ELb0EfEEviiPKiS2_PKT2_iPS3_iPiS2_S7_21rocsparse_index_base_20rocsparse_diag_type_20rocsparse_direction_
		.amdhsa_group_segment_fixed_size 0
		.amdhsa_private_segment_fixed_size 0
		.amdhsa_kernarg_size 92
		.amdhsa_user_sgpr_count 2
		.amdhsa_user_sgpr_dispatch_ptr 0
		.amdhsa_user_sgpr_queue_ptr 0
		.amdhsa_user_sgpr_kernarg_segment_ptr 1
		.amdhsa_user_sgpr_dispatch_id 0
		.amdhsa_user_sgpr_kernarg_preload_length 0
		.amdhsa_user_sgpr_kernarg_preload_offset 0
		.amdhsa_user_sgpr_private_segment_size 0
		.amdhsa_wavefront_size32 1
		.amdhsa_uses_dynamic_stack 0
		.amdhsa_enable_private_segment 0
		.amdhsa_system_sgpr_workgroup_id_x 1
		.amdhsa_system_sgpr_workgroup_id_y 0
		.amdhsa_system_sgpr_workgroup_id_z 0
		.amdhsa_system_sgpr_workgroup_info 0
		.amdhsa_system_vgpr_workitem_id 0
		.amdhsa_next_free_vgpr 14
		.amdhsa_next_free_sgpr 36
		.amdhsa_named_barrier_count 0
		.amdhsa_reserve_vcc 1
		.amdhsa_float_round_mode_32 0
		.amdhsa_float_round_mode_16_64 0
		.amdhsa_float_denorm_mode_32 3
		.amdhsa_float_denorm_mode_16_64 3
		.amdhsa_fp16_overflow 0
		.amdhsa_memory_ordered 1
		.amdhsa_forward_progress 1
		.amdhsa_inst_pref_size 13
		.amdhsa_round_robin_scheduling 0
		.amdhsa_exception_fp_ieee_invalid_op 0
		.amdhsa_exception_fp_denorm_src 0
		.amdhsa_exception_fp_ieee_div_zero 0
		.amdhsa_exception_fp_ieee_overflow 0
		.amdhsa_exception_fp_ieee_underflow 0
		.amdhsa_exception_fp_ieee_inexact 0
		.amdhsa_exception_int_div_zero 0
	.end_amdhsa_kernel
	.section	.text._ZN9rocsparseL24bsrsm_lower_large_kernelILj64ELj16ELb0EfEEviiPKiS2_PKT2_iPS3_iPiS2_S7_21rocsparse_index_base_20rocsparse_diag_type_20rocsparse_direction_,"axG",@progbits,_ZN9rocsparseL24bsrsm_lower_large_kernelILj64ELj16ELb0EfEEviiPKiS2_PKT2_iPS3_iPiS2_S7_21rocsparse_index_base_20rocsparse_diag_type_20rocsparse_direction_,comdat
.Lfunc_end7:
	.size	_ZN9rocsparseL24bsrsm_lower_large_kernelILj64ELj16ELb0EfEEviiPKiS2_PKT2_iPS3_iPiS2_S7_21rocsparse_index_base_20rocsparse_diag_type_20rocsparse_direction_, .Lfunc_end7-_ZN9rocsparseL24bsrsm_lower_large_kernelILj64ELj16ELb0EfEEviiPKiS2_PKT2_iPS3_iPiS2_S7_21rocsparse_index_base_20rocsparse_diag_type_20rocsparse_direction_
                                        ; -- End function
	.set _ZN9rocsparseL24bsrsm_lower_large_kernelILj64ELj16ELb0EfEEviiPKiS2_PKT2_iPS3_iPiS2_S7_21rocsparse_index_base_20rocsparse_diag_type_20rocsparse_direction_.num_vgpr, 14
	.set _ZN9rocsparseL24bsrsm_lower_large_kernelILj64ELj16ELb0EfEEviiPKiS2_PKT2_iPS3_iPiS2_S7_21rocsparse_index_base_20rocsparse_diag_type_20rocsparse_direction_.num_agpr, 0
	.set _ZN9rocsparseL24bsrsm_lower_large_kernelILj64ELj16ELb0EfEEviiPKiS2_PKT2_iPS3_iPiS2_S7_21rocsparse_index_base_20rocsparse_diag_type_20rocsparse_direction_.numbered_sgpr, 36
	.set _ZN9rocsparseL24bsrsm_lower_large_kernelILj64ELj16ELb0EfEEviiPKiS2_PKT2_iPS3_iPiS2_S7_21rocsparse_index_base_20rocsparse_diag_type_20rocsparse_direction_.num_named_barrier, 0
	.set _ZN9rocsparseL24bsrsm_lower_large_kernelILj64ELj16ELb0EfEEviiPKiS2_PKT2_iPS3_iPiS2_S7_21rocsparse_index_base_20rocsparse_diag_type_20rocsparse_direction_.private_seg_size, 0
	.set _ZN9rocsparseL24bsrsm_lower_large_kernelILj64ELj16ELb0EfEEviiPKiS2_PKT2_iPS3_iPiS2_S7_21rocsparse_index_base_20rocsparse_diag_type_20rocsparse_direction_.uses_vcc, 1
	.set _ZN9rocsparseL24bsrsm_lower_large_kernelILj64ELj16ELb0EfEEviiPKiS2_PKT2_iPS3_iPiS2_S7_21rocsparse_index_base_20rocsparse_diag_type_20rocsparse_direction_.uses_flat_scratch, 0
	.set _ZN9rocsparseL24bsrsm_lower_large_kernelILj64ELj16ELb0EfEEviiPKiS2_PKT2_iPS3_iPiS2_S7_21rocsparse_index_base_20rocsparse_diag_type_20rocsparse_direction_.has_dyn_sized_stack, 0
	.set _ZN9rocsparseL24bsrsm_lower_large_kernelILj64ELj16ELb0EfEEviiPKiS2_PKT2_iPS3_iPiS2_S7_21rocsparse_index_base_20rocsparse_diag_type_20rocsparse_direction_.has_recursion, 0
	.set _ZN9rocsparseL24bsrsm_lower_large_kernelILj64ELj16ELb0EfEEviiPKiS2_PKT2_iPS3_iPiS2_S7_21rocsparse_index_base_20rocsparse_diag_type_20rocsparse_direction_.has_indirect_call, 0
	.section	.AMDGPU.csdata,"",@progbits
; Kernel info:
; codeLenInByte = 1612
; TotalNumSgprs: 38
; NumVgprs: 14
; ScratchSize: 0
; MemoryBound: 0
; FloatMode: 240
; IeeeMode: 1
; LDSByteSize: 0 bytes/workgroup (compile time only)
; SGPRBlocks: 0
; VGPRBlocks: 0
; NumSGPRsForWavesPerEU: 38
; NumVGPRsForWavesPerEU: 14
; NamedBarCnt: 0
; Occupancy: 16
; WaveLimiterHint : 1
; COMPUTE_PGM_RSRC2:SCRATCH_EN: 0
; COMPUTE_PGM_RSRC2:USER_SGPR: 2
; COMPUTE_PGM_RSRC2:TRAP_HANDLER: 0
; COMPUTE_PGM_RSRC2:TGID_X_EN: 1
; COMPUTE_PGM_RSRC2:TGID_Y_EN: 0
; COMPUTE_PGM_RSRC2:TGID_Z_EN: 0
; COMPUTE_PGM_RSRC2:TIDIG_COMP_CNT: 0
	.section	.text._ZN9rocsparseL24bsrsm_upper_large_kernelILj128ELj16ELb0EfEEviiPKiS2_PKT2_iPS3_iPiS2_S7_21rocsparse_index_base_20rocsparse_diag_type_20rocsparse_direction_,"axG",@progbits,_ZN9rocsparseL24bsrsm_upper_large_kernelILj128ELj16ELb0EfEEviiPKiS2_PKT2_iPS3_iPiS2_S7_21rocsparse_index_base_20rocsparse_diag_type_20rocsparse_direction_,comdat
	.globl	_ZN9rocsparseL24bsrsm_upper_large_kernelILj128ELj16ELb0EfEEviiPKiS2_PKT2_iPS3_iPiS2_S7_21rocsparse_index_base_20rocsparse_diag_type_20rocsparse_direction_ ; -- Begin function _ZN9rocsparseL24bsrsm_upper_large_kernelILj128ELj16ELb0EfEEviiPKiS2_PKT2_iPS3_iPiS2_S7_21rocsparse_index_base_20rocsparse_diag_type_20rocsparse_direction_
	.p2align	8
	.type	_ZN9rocsparseL24bsrsm_upper_large_kernelILj128ELj16ELb0EfEEviiPKiS2_PKT2_iPS3_iPiS2_S7_21rocsparse_index_base_20rocsparse_diag_type_20rocsparse_direction_,@function
_ZN9rocsparseL24bsrsm_upper_large_kernelILj128ELj16ELb0EfEEviiPKiS2_PKT2_iPS3_iPiS2_S7_21rocsparse_index_base_20rocsparse_diag_type_20rocsparse_direction_: ; @_ZN9rocsparseL24bsrsm_upper_large_kernelILj128ELj16ELb0EfEEviiPKiS2_PKT2_iPS3_iPiS2_S7_21rocsparse_index_base_20rocsparse_diag_type_20rocsparse_direction_
; %bb.0:
	s_clause 0x1
	s_load_b64 s[24:25], s[0:1], 0x0
	s_load_b128 s[8:11], s[0:1], 0x8
	s_bfe_u32 s4, ttmp6, 0x4000c
	s_and_b32 s3, ttmp6, 15
	s_add_co_i32 s4, s4, 1
	s_getreg_b32 s5, hwreg(HW_REG_IB_STS2, 6, 4)
	s_mul_i32 s4, ttmp9, s4
	v_dual_lshrrev_b32 v2, 3, v0 :: v_dual_bitop2_b32 v4, 7, v0 bitop3:0x40
	s_add_co_i32 s3, s3, s4
	s_wait_kmcnt 0x0
	s_cvt_f32_u32 s2, s24
	s_sub_co_i32 s6, 0, s24
	s_delay_alu instid0(SALU_CYCLE_2) | instskip(SKIP_1) | instid1(TRANS32_DEP_1)
	v_rcp_iflag_f32_e32 v1, s2
	v_nop
	v_readfirstlane_b32 s2, v1
	s_mul_f32 s2, s2, 0x4f7ffffe
	s_delay_alu instid0(SALU_CYCLE_3) | instskip(NEXT) | instid1(SALU_CYCLE_3)
	s_cvt_u32_f32 s2, s2
	s_mul_i32 s6, s6, s2
	s_delay_alu instid0(SALU_CYCLE_1) | instskip(NEXT) | instid1(SALU_CYCLE_1)
	s_mul_hi_u32 s6, s2, s6
	s_add_co_i32 s2, s2, s6
	s_cmp_eq_u32 s5, 0
	s_load_b128 s[4:7], s[0:1], 0x38
	s_cselect_b32 s3, ttmp9, s3
	s_delay_alu instid0(SALU_CYCLE_1) | instskip(NEXT) | instid1(SALU_CYCLE_1)
	s_mul_hi_u32 s2, s3, s2
	s_mul_i32 s12, s2, s24
	s_add_co_i32 s13, s2, 1
	s_sub_co_i32 s12, s3, s12
	s_delay_alu instid0(SALU_CYCLE_1)
	s_sub_co_i32 s14, s12, s24
	s_cmp_ge_u32 s12, s24
	s_cselect_b32 s2, s13, s2
	s_cselect_b32 s12, s14, s12
	s_add_co_i32 s13, s2, 1
	s_cmp_ge_u32 s12, s24
	s_cselect_b32 s19, s13, s2
	s_delay_alu instid0(SALU_CYCLE_1) | instskip(SKIP_4) | instid1(SALU_CYCLE_1)
	s_mul_i32 s15, s19, s24
	s_lshl_b32 s19, s19, 4
	s_sub_co_i32 s2, s3, s15
	v_or_b32_e32 v1, s19, v2
	s_ashr_i32 s3, s2, 31
	s_lshl_b64 s[12:13], s[2:3], 2
	s_load_b64 s[2:3], s[0:1], 0x48
	s_wait_kmcnt 0x0
	s_add_nc_u64 s[6:7], s[6:7], s[12:13]
	s_load_b96 s[12:14], s[0:1], 0x50
	v_cmp_gt_i32_e32 vcc_lo, s25, v1
	s_load_b32 s6, s[6:7], 0x0
	s_wait_kmcnt 0x0
	s_ashr_i32 s7, s6, 31
	s_delay_alu instid0(SALU_CYCLE_1) | instskip(NEXT) | instid1(SALU_CYCLE_1)
	s_lshl_b64 s[16:17], s[6:7], 2
	s_add_nc_u64 s[8:9], s[8:9], s[16:17]
	s_load_b64 s[26:27], s[8:9], 0x0
	s_clause 0x1
	s_load_b96 s[16:18], s[0:1], 0x18
	s_load_b96 s[20:22], s[0:1], 0x28
	s_wait_xcnt 0x0
	s_not_b32 s0, s12
	s_wait_kmcnt 0x0
	s_add_co_i32 s23, s27, s0
	v_cmp_eq_u32_e64 s0, 0, v0
	s_sub_co_i32 s26, s26, s12
	s_mul_i32 s7, s6, s18
	s_cmp_lt_i32 s23, s26
	s_cbranch_scc1 .LBB8_18
; %bb.1:
	v_mad_u32 v3, s18, s23, v4
	v_cmp_gt_i32_e64 s1, s18, v4
	v_mov_b32_e32 v5, 0
	s_cmp_lg_u32 s14, 0
	s_mul_i32 s29, s22, s18
	s_cselect_b32 s27, -1, 0
	s_and_b32 s1, vcc_lo, s1
	s_mul_i32 s30, s18, s18
	s_lshl_b32 s31, s18, 3
	v_mul_lo_u32 v3, s18, v3
	s_branch .LBB8_3
.LBB8_2:                                ;   in Loop: Header=BB8_3 Depth=1
                                        ; implicit-def: $vgpr3
	s_cbranch_execnz .LBB8_19
.LBB8_3:                                ; =>This Loop Header: Depth=1
                                        ;     Child Loop BB8_7 Depth 2
                                        ;     Child Loop BB8_11 Depth 2
                                        ;       Child Loop BB8_13 Depth 3
	s_wait_xcnt 0x0
	v_mov_b32_e32 v6, s23
	global_load_b32 v6, v6, s[10:11] scale_offset
	s_wait_loadcnt 0x0
	v_readfirstlane_b32 s8, v6
	s_sub_co_i32 s28, s8, s12
	s_delay_alu instid0(SALU_CYCLE_1)
	s_cmp_le_i32 s28, s6
	s_cbranch_scc1 .LBB8_2
; %bb.4:                                ;   in Loop: Header=BB8_3 Depth=1
	s_wait_xcnt 0x0
	s_and_saveexec_b32 s33, s0
	s_cbranch_execz .LBB8_8
; %bb.5:                                ;   in Loop: Header=BB8_3 Depth=1
	s_add_co_i32 s8, s28, s15
	s_delay_alu instid0(SALU_CYCLE_1)
	v_mov_b32_e32 v6, s8
	global_load_b32 v6, v6, s[4:5] scale_offset scope:SCOPE_DEV
	s_wait_loadcnt 0x0
	v_cmp_ne_u32_e32 vcc_lo, 0, v6
	s_cbranch_vccnz .LBB8_8
; %bb.6:                                ;   in Loop: Header=BB8_3 Depth=1
	s_ashr_i32 s9, s8, 31
	s_delay_alu instid0(SALU_CYCLE_1) | instskip(NEXT) | instid1(SALU_CYCLE_1)
	s_lshl_b64 s[8:9], s[8:9], 2
	s_add_nc_u64 s[8:9], s[4:5], s[8:9]
.LBB8_7:                                ;   Parent Loop BB8_3 Depth=1
                                        ; =>  This Inner Loop Header: Depth=2
	global_load_b32 v6, v5, s[8:9] scope:SCOPE_DEV
	s_wait_loadcnt 0x0
	v_cmp_eq_u32_e32 vcc_lo, 0, v6
	s_cbranch_vccnz .LBB8_7
.LBB8_8:                                ;   in Loop: Header=BB8_3 Depth=1
	s_wait_xcnt 0x0
	s_or_b32 exec_lo, exec_lo, s33
	global_wb scope:SCOPE_DEV
	s_wait_storecnt 0x0
	global_inv scope:SCOPE_DEV
	s_wait_loadcnt 0x0
	s_barrier_signal -1
	s_barrier_wait -1
	s_and_saveexec_b32 s8, s1
	s_cbranch_execz .LBB8_17
; %bb.9:                                ;   in Loop: Header=BB8_3 Depth=1
	v_mad_u32 v6, s29, s28, v1
	v_dual_mov_b32 v7, v3 :: v_dual_mov_b32 v8, v4
	s_mul_i32 s9, s23, s18
	s_mov_b32 s33, 0
	s_branch .LBB8_11
.LBB8_10:                               ;   in Loop: Header=BB8_11 Depth=2
	v_dual_add_nc_u32 v10, s7, v8 :: v_dual_add_nc_u32 v8, 8, v8
	v_add_nc_u32_e32 v7, s31, v7
	s_delay_alu instid0(VALU_DEP_2) | instskip(NEXT) | instid1(VALU_DEP_3)
	v_mad_u32 v10, v10, s22, v1
	v_cmp_le_i32_e32 vcc_lo, s18, v8
	s_or_b32 s33, vcc_lo, s33
	global_load_b32 v11, v10, s[20:21] scale_offset
	s_wait_loadcnt 0x0
	v_sub_f32_e32 v9, v11, v9
	global_store_b32 v10, v9, s[20:21] scale_offset
	s_wait_xcnt 0x0
	s_and_not1_b32 exec_lo, exec_lo, s33
	s_cbranch_execz .LBB8_17
.LBB8_11:                               ;   Parent Loop BB8_3 Depth=1
                                        ; =>  This Loop Header: Depth=2
                                        ;       Child Loop BB8_13 Depth 3
	s_delay_alu instid0(VALU_DEP_2)
	v_dual_mov_b32 v9, 0 :: v_dual_mov_b32 v10, v6
	s_mov_b32 s34, 0
	s_branch .LBB8_13
.LBB8_12:                               ;   in Loop: Header=BB8_13 Depth=3
	global_load_b32 v12, v11, s[16:17] scale_offset
	global_load_b32 v13, v10, s[20:21] scale_offset
	s_add_co_i32 s34, s34, 1
	s_wait_xcnt 0x0
	v_add_nc_u32_e32 v10, s22, v10
	s_cmp_eq_u32 s18, s34
	s_wait_loadcnt 0x0
	v_fmac_f32_e32 v9, v12, v13
	s_cbranch_scc1 .LBB8_10
.LBB8_13:                               ;   Parent Loop BB8_3 Depth=1
                                        ;     Parent Loop BB8_11 Depth=2
                                        ; =>    This Inner Loop Header: Depth=3
	s_and_b32 vcc_lo, exec_lo, s27
	s_cbranch_vccz .LBB8_15
; %bb.14:                               ;   in Loop: Header=BB8_13 Depth=3
	s_add_co_i32 s35, s34, s9
	s_delay_alu instid0(SALU_CYCLE_1)
	v_mad_u32 v11, s35, s18, v8
	s_cbranch_execnz .LBB8_12
	s_branch .LBB8_16
.LBB8_15:                               ;   in Loop: Header=BB8_13 Depth=3
                                        ; implicit-def: $vgpr11
.LBB8_16:                               ;   in Loop: Header=BB8_13 Depth=3
	v_add_nc_u32_e32 v11, s34, v7
	s_branch .LBB8_12
.LBB8_17:                               ;   in Loop: Header=BB8_3 Depth=1
	s_or_b32 exec_lo, exec_lo, s8
	s_add_co_i32 s9, s23, -1
	s_cmp_le_i32 s23, s26
	v_subrev_nc_u32_e32 v3, s30, v3
	s_cselect_b32 s8, -1, 0
	s_mov_b32 s23, s9
	s_and_b32 vcc_lo, exec_lo, s8
	s_cbranch_vccz .LBB8_3
	s_branch .LBB8_19
.LBB8_18:
	s_mov_b32 s28, s24
.LBB8_19:
	s_cmp_lt_i32 s6, s24
	v_cmp_gt_i32_e32 vcc_lo, s25, v1
	s_cselect_b32 s0, -1, 0
	s_cmp_eq_u32 s6, s28
	s_cselect_b32 s1, -1, 0
	s_delay_alu instid0(SALU_CYCLE_1) | instskip(SKIP_2) | instid1(SALU_CYCLE_1)
	s_and_b32 s1, vcc_lo, s1
	s_cmp_gt_i32 s18, 0
	s_cselect_b32 s8, -1, 0
	s_and_b32 s1, s1, s8
	s_mov_b32 s8, 0
	s_and_b32 s9, s1, s0
	s_wait_xcnt 0x0
	s_and_saveexec_b32 s1, s9
	s_cbranch_execz .LBB8_35
; %bb.20:
	v_add_nc_u32_e32 v3, s7, v4
	s_cmp_eq_u32 s13, 0
	s_mov_b32 s10, 0
	s_cselect_b32 s8, -1, 0
	s_cmp_lg_u32 s14, 0
	v_mul_lo_u32 v3, s22, v3
	s_cselect_b32 s9, -1, 0
	s_add_co_i32 s11, s23, 1
	s_delay_alu instid0(SALU_CYCLE_1) | instskip(SKIP_4) | instid1(VALU_DEP_1)
	s_mul_i32 s13, s18, s11
	s_mul_i32 s11, s23, s18
	s_add_co_i32 s14, s13, -1
	s_lshl_b32 s13, s22, 3
	s_mul_i32 s14, s18, s14
	v_add3_u32 v5, v2, v3, s19
	s_mov_b32 s19, s18
	v_mov_b32_e32 v7, 1.0
	s_and_not1_b32 vcc_lo, exec_lo, s8
	s_add_co_i32 s23, s19, -1
	s_cbranch_vccnz .LBB8_22
.LBB8_21:
	s_add_co_i32 s24, s23, s11
	s_delay_alu instid0(SALU_CYCLE_1) | instskip(NEXT) | instid1(SALU_CYCLE_1)
	s_mul_i32 s24, s24, s18
	s_add_co_i32 s24, s24, s23
	s_delay_alu instid0(SALU_CYCLE_1)
	v_mov_b32_e32 v2, s24
	global_load_b32 v7, v2, s[16:17] scale_offset
.LBB8_22:                               ; =>This Loop Header: Depth=1
                                        ;     Child Loop BB8_27 Depth 2
	s_add_co_i32 s24, s23, s7
	s_wait_loadcnt 0x0
	v_cmp_eq_f32_e32 vcc_lo, 0, v7
	s_wait_xcnt 0x0
	v_mad_u32 v2, s24, s22, v1
	global_load_b32 v6, v2, s[20:21] scale_offset
	s_cbranch_vccnz .LBB8_24
; %bb.23:                               ;   in Loop: Header=BB8_22 Depth=1
	s_wait_loadcnt 0x0
	v_div_scale_f32 v3, null, v7, v7, v6
	s_delay_alu instid0(VALU_DEP_1) | instskip(SKIP_1) | instid1(TRANS32_DEP_1)
	v_rcp_f32_e32 v8, v3
	v_nop
	v_fma_f32 v9, -v3, v8, 1.0
	s_delay_alu instid0(VALU_DEP_1) | instskip(SKIP_1) | instid1(VALU_DEP_1)
	v_fmac_f32_e32 v8, v9, v8
	v_div_scale_f32 v9, vcc_lo, v6, v7, v6
	v_mul_f32_e32 v10, v9, v8
	s_delay_alu instid0(VALU_DEP_1) | instskip(NEXT) | instid1(VALU_DEP_1)
	v_fma_f32 v11, -v3, v10, v9
	v_fmac_f32_e32 v10, v11, v8
	s_delay_alu instid0(VALU_DEP_1) | instskip(SKIP_1) | instid1(VALU_DEP_2)
	v_fma_f32 v9, -v3, v10, v9
	v_ashrrev_i32_e32 v3, 31, v2
	v_div_fmas_f32 v8, v9, v8, v10
	s_wait_xcnt 0x0
	s_delay_alu instid0(VALU_DEP_2) | instskip(NEXT) | instid1(VALU_DEP_2)
	v_lshl_add_u64 v[2:3], v[2:3], 2, s[20:21]
	v_div_fixup_f32 v6, v8, v7, v6
	global_store_b32 v[2:3], v6, off
	s_mov_b32 s24, exec_lo
	s_wait_xcnt 0x0
	v_cmpx_gt_i32_e64 s23, v4
	s_cbranch_execnz .LBB8_25
	s_branch .LBB8_31
.LBB8_24:                               ;   in Loop: Header=BB8_22 Depth=1
	s_mov_b32 s10, -1
	s_mov_b32 s24, exec_lo
	s_wait_xcnt 0x0
	v_cmpx_gt_i32_e64 s23, v4
	s_cbranch_execz .LBB8_31
.LBB8_25:                               ;   in Loop: Header=BB8_22 Depth=1
	v_dual_mov_b32 v2, v5 :: v_dual_mov_b32 v3, v4
	s_mov_b32 s25, 0
	s_branch .LBB8_27
.LBB8_26:                               ;   in Loop: Header=BB8_27 Depth=2
	global_load_b32 v8, v7, s[16:17] scale_offset
	global_load_b32 v9, v2, s[20:21] scale_offset
	s_wait_loadcnt 0x0
	s_wait_xcnt 0x1
	v_dual_add_nc_u32 v3, 8, v3 :: v_dual_fma_f32 v7, -v6, v8, v9
	s_delay_alu instid0(VALU_DEP_1) | instskip(SKIP_4) | instid1(SALU_CYCLE_1)
	v_cmp_le_i32_e32 vcc_lo, s23, v3
	global_store_b32 v2, v7, s[20:21] scale_offset
	s_wait_xcnt 0x0
	v_add_nc_u32_e32 v2, s13, v2
	s_or_b32 s25, vcc_lo, s25
	s_and_not1_b32 exec_lo, exec_lo, s25
	s_cbranch_execz .LBB8_31
.LBB8_27:                               ;   Parent Loop BB8_22 Depth=1
                                        ; =>  This Inner Loop Header: Depth=2
	s_and_b32 vcc_lo, exec_lo, s9
	s_cbranch_vccz .LBB8_29
; %bb.28:                               ;   in Loop: Header=BB8_27 Depth=2
	v_add_nc_u32_e32 v7, s14, v3
	s_cbranch_execnz .LBB8_26
	s_branch .LBB8_30
.LBB8_29:                               ;   in Loop: Header=BB8_27 Depth=2
                                        ; implicit-def: $vgpr7
.LBB8_30:                               ;   in Loop: Header=BB8_27 Depth=2
	v_add_nc_u32_e32 v7, s11, v3
	s_delay_alu instid0(VALU_DEP_1)
	v_mad_u32 v7, v7, s18, s23
	s_branch .LBB8_26
.LBB8_31:                               ;   in Loop: Header=BB8_22 Depth=1
	s_or_b32 exec_lo, exec_lo, s24
; %bb.32:                               ;   in Loop: Header=BB8_22 Depth=1
	s_sub_co_i32 s14, s14, s18
	s_cmp_lt_i32 s19, 2
	s_cbranch_scc1 .LBB8_34
; %bb.33:                               ;   in Loop: Header=BB8_22 Depth=1
	s_mov_b32 s19, s23
	v_mov_b32_e32 v7, 1.0
	s_and_not1_b32 vcc_lo, exec_lo, s8
	s_add_co_i32 s23, s19, -1
	s_cbranch_vccnz .LBB8_22
	s_branch .LBB8_21
.LBB8_34:
	s_and_b32 s8, s10, exec_lo
.LBB8_35:
	s_or_b32 exec_lo, exec_lo, s1
	v_cmp_eq_u32_e32 vcc_lo, 0, v0
	global_wb scope:SCOPE_DEV
	s_wait_loadcnt 0x0
	s_wait_storecnt 0x0
	global_inv scope:SCOPE_DEV
	s_wait_loadcnt 0x0
	s_barrier_signal -1
	s_barrier_wait -1
	s_and_b32 s0, vcc_lo, s0
	s_delay_alu instid0(SALU_CYCLE_1)
	s_and_saveexec_b32 s1, s0
	s_cbranch_execz .LBB8_39
; %bb.36:
	s_add_co_i32 s0, s6, s15
	s_delay_alu instid0(SALU_CYCLE_1)
	v_dual_mov_b32 v0, 1 :: v_dual_mov_b32 v1, s0
	global_store_b32 v1, v0, s[4:5] scale_offset scope:SCOPE_DEV
	s_wait_xcnt 0x0
	s_and_b32 exec_lo, exec_lo, s8
	s_cbranch_execz .LBB8_39
; %bb.37:
	v_mbcnt_lo_u32_b32 v0, exec_lo, 0
	s_delay_alu instid0(VALU_DEP_1)
	v_cmp_eq_u32_e32 vcc_lo, 0, v0
	s_and_b32 exec_lo, exec_lo, vcc_lo
	s_cbranch_execz .LBB8_39
; %bb.38:
	s_add_co_i32 s0, s6, s12
	s_delay_alu instid0(SALU_CYCLE_1)
	v_dual_mov_b32 v0, 0 :: v_dual_mov_b32 v1, s0
	global_atomic_min_i32 v0, v1, s[2:3] scope:SCOPE_DEV
.LBB8_39:
	s_endpgm
	.section	.rodata,"a",@progbits
	.p2align	6, 0x0
	.amdhsa_kernel _ZN9rocsparseL24bsrsm_upper_large_kernelILj128ELj16ELb0EfEEviiPKiS2_PKT2_iPS3_iPiS2_S7_21rocsparse_index_base_20rocsparse_diag_type_20rocsparse_direction_
		.amdhsa_group_segment_fixed_size 0
		.amdhsa_private_segment_fixed_size 0
		.amdhsa_kernarg_size 92
		.amdhsa_user_sgpr_count 2
		.amdhsa_user_sgpr_dispatch_ptr 0
		.amdhsa_user_sgpr_queue_ptr 0
		.amdhsa_user_sgpr_kernarg_segment_ptr 1
		.amdhsa_user_sgpr_dispatch_id 0
		.amdhsa_user_sgpr_kernarg_preload_length 0
		.amdhsa_user_sgpr_kernarg_preload_offset 0
		.amdhsa_user_sgpr_private_segment_size 0
		.amdhsa_wavefront_size32 1
		.amdhsa_uses_dynamic_stack 0
		.amdhsa_enable_private_segment 0
		.amdhsa_system_sgpr_workgroup_id_x 1
		.amdhsa_system_sgpr_workgroup_id_y 0
		.amdhsa_system_sgpr_workgroup_id_z 0
		.amdhsa_system_sgpr_workgroup_info 0
		.amdhsa_system_vgpr_workitem_id 0
		.amdhsa_next_free_vgpr 14
		.amdhsa_next_free_sgpr 36
		.amdhsa_named_barrier_count 0
		.amdhsa_reserve_vcc 1
		.amdhsa_float_round_mode_32 0
		.amdhsa_float_round_mode_16_64 0
		.amdhsa_float_denorm_mode_32 3
		.amdhsa_float_denorm_mode_16_64 3
		.amdhsa_fp16_overflow 0
		.amdhsa_memory_ordered 1
		.amdhsa_forward_progress 1
		.amdhsa_inst_pref_size 13
		.amdhsa_round_robin_scheduling 0
		.amdhsa_exception_fp_ieee_invalid_op 0
		.amdhsa_exception_fp_denorm_src 0
		.amdhsa_exception_fp_ieee_div_zero 0
		.amdhsa_exception_fp_ieee_overflow 0
		.amdhsa_exception_fp_ieee_underflow 0
		.amdhsa_exception_fp_ieee_inexact 0
		.amdhsa_exception_int_div_zero 0
	.end_amdhsa_kernel
	.section	.text._ZN9rocsparseL24bsrsm_upper_large_kernelILj128ELj16ELb0EfEEviiPKiS2_PKT2_iPS3_iPiS2_S7_21rocsparse_index_base_20rocsparse_diag_type_20rocsparse_direction_,"axG",@progbits,_ZN9rocsparseL24bsrsm_upper_large_kernelILj128ELj16ELb0EfEEviiPKiS2_PKT2_iPS3_iPiS2_S7_21rocsparse_index_base_20rocsparse_diag_type_20rocsparse_direction_,comdat
.Lfunc_end8:
	.size	_ZN9rocsparseL24bsrsm_upper_large_kernelILj128ELj16ELb0EfEEviiPKiS2_PKT2_iPS3_iPiS2_S7_21rocsparse_index_base_20rocsparse_diag_type_20rocsparse_direction_, .Lfunc_end8-_ZN9rocsparseL24bsrsm_upper_large_kernelILj128ELj16ELb0EfEEviiPKiS2_PKT2_iPS3_iPiS2_S7_21rocsparse_index_base_20rocsparse_diag_type_20rocsparse_direction_
                                        ; -- End function
	.set _ZN9rocsparseL24bsrsm_upper_large_kernelILj128ELj16ELb0EfEEviiPKiS2_PKT2_iPS3_iPiS2_S7_21rocsparse_index_base_20rocsparse_diag_type_20rocsparse_direction_.num_vgpr, 14
	.set _ZN9rocsparseL24bsrsm_upper_large_kernelILj128ELj16ELb0EfEEviiPKiS2_PKT2_iPS3_iPiS2_S7_21rocsparse_index_base_20rocsparse_diag_type_20rocsparse_direction_.num_agpr, 0
	.set _ZN9rocsparseL24bsrsm_upper_large_kernelILj128ELj16ELb0EfEEviiPKiS2_PKT2_iPS3_iPiS2_S7_21rocsparse_index_base_20rocsparse_diag_type_20rocsparse_direction_.numbered_sgpr, 36
	.set _ZN9rocsparseL24bsrsm_upper_large_kernelILj128ELj16ELb0EfEEviiPKiS2_PKT2_iPS3_iPiS2_S7_21rocsparse_index_base_20rocsparse_diag_type_20rocsparse_direction_.num_named_barrier, 0
	.set _ZN9rocsparseL24bsrsm_upper_large_kernelILj128ELj16ELb0EfEEviiPKiS2_PKT2_iPS3_iPiS2_S7_21rocsparse_index_base_20rocsparse_diag_type_20rocsparse_direction_.private_seg_size, 0
	.set _ZN9rocsparseL24bsrsm_upper_large_kernelILj128ELj16ELb0EfEEviiPKiS2_PKT2_iPS3_iPiS2_S7_21rocsparse_index_base_20rocsparse_diag_type_20rocsparse_direction_.uses_vcc, 1
	.set _ZN9rocsparseL24bsrsm_upper_large_kernelILj128ELj16ELb0EfEEviiPKiS2_PKT2_iPS3_iPiS2_S7_21rocsparse_index_base_20rocsparse_diag_type_20rocsparse_direction_.uses_flat_scratch, 0
	.set _ZN9rocsparseL24bsrsm_upper_large_kernelILj128ELj16ELb0EfEEviiPKiS2_PKT2_iPS3_iPiS2_S7_21rocsparse_index_base_20rocsparse_diag_type_20rocsparse_direction_.has_dyn_sized_stack, 0
	.set _ZN9rocsparseL24bsrsm_upper_large_kernelILj128ELj16ELb0EfEEviiPKiS2_PKT2_iPS3_iPiS2_S7_21rocsparse_index_base_20rocsparse_diag_type_20rocsparse_direction_.has_recursion, 0
	.set _ZN9rocsparseL24bsrsm_upper_large_kernelILj128ELj16ELb0EfEEviiPKiS2_PKT2_iPS3_iPiS2_S7_21rocsparse_index_base_20rocsparse_diag_type_20rocsparse_direction_.has_indirect_call, 0
	.section	.AMDGPU.csdata,"",@progbits
; Kernel info:
; codeLenInByte = 1596
; TotalNumSgprs: 38
; NumVgprs: 14
; ScratchSize: 0
; MemoryBound: 0
; FloatMode: 240
; IeeeMode: 1
; LDSByteSize: 0 bytes/workgroup (compile time only)
; SGPRBlocks: 0
; VGPRBlocks: 0
; NumSGPRsForWavesPerEU: 38
; NumVGPRsForWavesPerEU: 14
; NamedBarCnt: 0
; Occupancy: 16
; WaveLimiterHint : 1
; COMPUTE_PGM_RSRC2:SCRATCH_EN: 0
; COMPUTE_PGM_RSRC2:USER_SGPR: 2
; COMPUTE_PGM_RSRC2:TRAP_HANDLER: 0
; COMPUTE_PGM_RSRC2:TGID_X_EN: 1
; COMPUTE_PGM_RSRC2:TGID_Y_EN: 0
; COMPUTE_PGM_RSRC2:TGID_Z_EN: 0
; COMPUTE_PGM_RSRC2:TIDIG_COMP_CNT: 0
	.section	.text._ZN9rocsparseL24bsrsm_lower_large_kernelILj128ELj16ELb0EfEEviiPKiS2_PKT2_iPS3_iPiS2_S7_21rocsparse_index_base_20rocsparse_diag_type_20rocsparse_direction_,"axG",@progbits,_ZN9rocsparseL24bsrsm_lower_large_kernelILj128ELj16ELb0EfEEviiPKiS2_PKT2_iPS3_iPiS2_S7_21rocsparse_index_base_20rocsparse_diag_type_20rocsparse_direction_,comdat
	.globl	_ZN9rocsparseL24bsrsm_lower_large_kernelILj128ELj16ELb0EfEEviiPKiS2_PKT2_iPS3_iPiS2_S7_21rocsparse_index_base_20rocsparse_diag_type_20rocsparse_direction_ ; -- Begin function _ZN9rocsparseL24bsrsm_lower_large_kernelILj128ELj16ELb0EfEEviiPKiS2_PKT2_iPS3_iPiS2_S7_21rocsparse_index_base_20rocsparse_diag_type_20rocsparse_direction_
	.p2align	8
	.type	_ZN9rocsparseL24bsrsm_lower_large_kernelILj128ELj16ELb0EfEEviiPKiS2_PKT2_iPS3_iPiS2_S7_21rocsparse_index_base_20rocsparse_diag_type_20rocsparse_direction_,@function
_ZN9rocsparseL24bsrsm_lower_large_kernelILj128ELj16ELb0EfEEviiPKiS2_PKT2_iPS3_iPiS2_S7_21rocsparse_index_base_20rocsparse_diag_type_20rocsparse_direction_: ; @_ZN9rocsparseL24bsrsm_lower_large_kernelILj128ELj16ELb0EfEEviiPKiS2_PKT2_iPS3_iPiS2_S7_21rocsparse_index_base_20rocsparse_diag_type_20rocsparse_direction_
; %bb.0:
	s_clause 0x1
	s_load_b64 s[24:25], s[0:1], 0x0
	s_load_b128 s[8:11], s[0:1], 0x8
	s_bfe_u32 s4, ttmp6, 0x4000c
	s_and_b32 s3, ttmp6, 15
	s_add_co_i32 s4, s4, 1
	s_getreg_b32 s5, hwreg(HW_REG_IB_STS2, 6, 4)
	s_mul_i32 s4, ttmp9, s4
	v_dual_lshrrev_b32 v2, 3, v0 :: v_dual_bitop2_b32 v3, 7, v0 bitop3:0x40
	s_add_co_i32 s3, s3, s4
	s_wait_kmcnt 0x0
	s_cvt_f32_u32 s2, s24
	s_sub_co_i32 s6, 0, s24
	s_delay_alu instid0(SALU_CYCLE_2) | instskip(SKIP_1) | instid1(TRANS32_DEP_1)
	v_rcp_iflag_f32_e32 v1, s2
	v_nop
	v_readfirstlane_b32 s2, v1
	s_mul_f32 s2, s2, 0x4f7ffffe
	s_delay_alu instid0(SALU_CYCLE_3) | instskip(NEXT) | instid1(SALU_CYCLE_3)
	s_cvt_u32_f32 s2, s2
	s_mul_i32 s6, s6, s2
	s_delay_alu instid0(SALU_CYCLE_1) | instskip(NEXT) | instid1(SALU_CYCLE_1)
	s_mul_hi_u32 s6, s2, s6
	s_add_co_i32 s2, s2, s6
	s_cmp_eq_u32 s5, 0
	s_load_b128 s[4:7], s[0:1], 0x38
	s_cselect_b32 s3, ttmp9, s3
	s_delay_alu instid0(SALU_CYCLE_1) | instskip(NEXT) | instid1(SALU_CYCLE_1)
	s_mul_hi_u32 s2, s3, s2
	s_mul_i32 s12, s2, s24
	s_add_co_i32 s13, s2, 1
	s_sub_co_i32 s12, s3, s12
	s_delay_alu instid0(SALU_CYCLE_1)
	s_sub_co_i32 s14, s12, s24
	s_cmp_ge_u32 s12, s24
	s_cselect_b32 s2, s13, s2
	s_cselect_b32 s12, s14, s12
	s_add_co_i32 s13, s2, 1
	s_cmp_ge_u32 s12, s24
	s_cselect_b32 s19, s13, s2
	s_delay_alu instid0(SALU_CYCLE_1) | instskip(SKIP_4) | instid1(SALU_CYCLE_1)
	s_mul_i32 s15, s19, s24
	s_lshl_b32 s19, s19, 4
	s_sub_co_i32 s2, s3, s15
	v_or_b32_e32 v1, s19, v2
	s_ashr_i32 s3, s2, 31
	s_lshl_b64 s[12:13], s[2:3], 2
	s_load_b64 s[2:3], s[0:1], 0x48
	s_wait_kmcnt 0x0
	s_add_nc_u64 s[6:7], s[6:7], s[12:13]
	v_cmp_gt_i32_e32 vcc_lo, s25, v1
	s_load_b32 s6, s[6:7], 0x0
	s_wait_kmcnt 0x0
	s_ashr_i32 s7, s6, 31
	s_delay_alu instid0(SALU_CYCLE_1) | instskip(NEXT) | instid1(SALU_CYCLE_1)
	s_lshl_b64 s[12:13], s[6:7], 2
	s_add_nc_u64 s[26:27], s[8:9], s[12:13]
	s_load_b96 s[12:14], s[0:1], 0x50
	s_load_b64 s[8:9], s[26:27], 0x0
	s_clause 0x1
	s_load_b96 s[16:18], s[0:1], 0x18
	s_load_b96 s[20:22], s[0:1], 0x28
	s_wait_xcnt 0x0
	v_cmp_eq_u32_e64 s0, 0, v0
	s_wait_kmcnt 0x0
	s_sub_co_i32 s23, s8, s12
	s_cmp_ge_i32 s8, s9
	s_mul_i32 s7, s6, s18
	s_mul_i32 s26, s18, s18
	s_cbranch_scc1 .LBB9_18
; %bb.1:
	v_mad_u32 v4, s18, s23, v3
	v_cmp_gt_i32_e64 s1, s18, v3
	s_sub_co_i32 s27, s9, s12
	v_mov_b32_e32 v5, 0
	s_cmp_lg_u32 s14, 0
	s_mul_i32 s30, s22, s18
	s_cselect_b32 s28, -1, 0
	s_and_b32 s29, vcc_lo, s1
	s_lshl_b32 s31, s18, 3
	v_mul_lo_u32 v4, s18, v4
	s_branch .LBB9_3
.LBB9_2:                                ;   in Loop: Header=BB9_3 Depth=1
                                        ; implicit-def: $vgpr4
	s_and_b32 vcc_lo, exec_lo, s8
	s_cbranch_vccnz .LBB9_19
.LBB9_3:                                ; =>This Loop Header: Depth=1
                                        ;     Child Loop BB9_7 Depth 2
                                        ;     Child Loop BB9_11 Depth 2
                                        ;       Child Loop BB9_13 Depth 3
	s_wait_xcnt 0x0
	v_mov_b32_e32 v6, s23
	s_mov_b32 s8, -1
	global_load_b32 v6, v6, s[10:11] scale_offset
	s_wait_loadcnt 0x0
	v_readfirstlane_b32 s1, v6
	s_sub_co_i32 s1, s1, s12
	s_delay_alu instid0(SALU_CYCLE_1)
	s_cmp_ge_i32 s1, s6
	s_cbranch_scc1 .LBB9_2
; %bb.4:                                ;   in Loop: Header=BB9_3 Depth=1
	s_wait_xcnt 0x0
	s_and_saveexec_b32 s33, s0
	s_cbranch_execz .LBB9_8
; %bb.5:                                ;   in Loop: Header=BB9_3 Depth=1
	s_add_co_i32 s8, s1, s15
	s_delay_alu instid0(SALU_CYCLE_1)
	v_mov_b32_e32 v6, s8
	global_load_b32 v6, v6, s[4:5] scale_offset scope:SCOPE_DEV
	s_wait_loadcnt 0x0
	v_cmp_ne_u32_e32 vcc_lo, 0, v6
	s_cbranch_vccnz .LBB9_8
; %bb.6:                                ;   in Loop: Header=BB9_3 Depth=1
	s_ashr_i32 s9, s8, 31
	s_delay_alu instid0(SALU_CYCLE_1) | instskip(NEXT) | instid1(SALU_CYCLE_1)
	s_lshl_b64 s[8:9], s[8:9], 2
	s_add_nc_u64 s[8:9], s[4:5], s[8:9]
.LBB9_7:                                ;   Parent Loop BB9_3 Depth=1
                                        ; =>  This Inner Loop Header: Depth=2
	global_load_b32 v6, v5, s[8:9] scope:SCOPE_DEV
	s_wait_loadcnt 0x0
	v_cmp_eq_u32_e32 vcc_lo, 0, v6
	s_cbranch_vccnz .LBB9_7
.LBB9_8:                                ;   in Loop: Header=BB9_3 Depth=1
	s_wait_xcnt 0x0
	s_or_b32 exec_lo, exec_lo, s33
	global_wb scope:SCOPE_DEV
	s_wait_storecnt 0x0
	global_inv scope:SCOPE_DEV
	s_wait_loadcnt 0x0
	s_barrier_signal -1
	s_barrier_wait -1
	s_and_saveexec_b32 s8, s29
	s_cbranch_execz .LBB9_17
; %bb.9:                                ;   in Loop: Header=BB9_3 Depth=1
	v_mad_u32 v6, s30, s1, v1
	v_dual_mov_b32 v7, v4 :: v_dual_mov_b32 v8, v3
	s_mul_i32 s9, s23, s18
	s_mov_b32 s33, 0
	s_branch .LBB9_11
.LBB9_10:                               ;   in Loop: Header=BB9_11 Depth=2
	v_dual_add_nc_u32 v10, s7, v8 :: v_dual_add_nc_u32 v8, 8, v8
	v_add_nc_u32_e32 v7, s31, v7
	s_delay_alu instid0(VALU_DEP_2) | instskip(NEXT) | instid1(VALU_DEP_3)
	v_mad_u32 v10, v10, s22, v1
	v_cmp_le_i32_e32 vcc_lo, s18, v8
	s_or_b32 s33, vcc_lo, s33
	global_load_b32 v11, v10, s[20:21] scale_offset
	s_wait_loadcnt 0x0
	v_sub_f32_e32 v9, v11, v9
	global_store_b32 v10, v9, s[20:21] scale_offset
	s_wait_xcnt 0x0
	s_and_not1_b32 exec_lo, exec_lo, s33
	s_cbranch_execz .LBB9_17
.LBB9_11:                               ;   Parent Loop BB9_3 Depth=1
                                        ; =>  This Loop Header: Depth=2
                                        ;       Child Loop BB9_13 Depth 3
	s_delay_alu instid0(VALU_DEP_2)
	v_dual_mov_b32 v9, 0 :: v_dual_mov_b32 v10, v6
	s_mov_b32 s34, 0
	s_branch .LBB9_13
.LBB9_12:                               ;   in Loop: Header=BB9_13 Depth=3
	global_load_b32 v12, v11, s[16:17] scale_offset
	global_load_b32 v13, v10, s[20:21] scale_offset
	s_add_co_i32 s34, s34, 1
	s_wait_xcnt 0x0
	v_add_nc_u32_e32 v10, s22, v10
	s_cmp_eq_u32 s18, s34
	s_wait_loadcnt 0x0
	v_fmac_f32_e32 v9, v12, v13
	s_cbranch_scc1 .LBB9_10
.LBB9_13:                               ;   Parent Loop BB9_3 Depth=1
                                        ;     Parent Loop BB9_11 Depth=2
                                        ; =>    This Inner Loop Header: Depth=3
	s_and_b32 vcc_lo, exec_lo, s28
	s_cbranch_vccz .LBB9_15
; %bb.14:                               ;   in Loop: Header=BB9_13 Depth=3
	s_add_co_i32 s35, s34, s9
	s_delay_alu instid0(SALU_CYCLE_1)
	v_mad_u32 v11, s35, s18, v8
	s_cbranch_execnz .LBB9_12
	s_branch .LBB9_16
.LBB9_15:                               ;   in Loop: Header=BB9_13 Depth=3
                                        ; implicit-def: $vgpr11
.LBB9_16:                               ;   in Loop: Header=BB9_13 Depth=3
	v_add_nc_u32_e32 v11, s34, v7
	s_branch .LBB9_12
.LBB9_17:                               ;   in Loop: Header=BB9_3 Depth=1
	s_or_b32 exec_lo, exec_lo, s8
	s_add_co_i32 s23, s23, 1
	v_add_nc_u32_e32 v4, s26, v4
	s_cmp_ge_i32 s23, s27
	s_cselect_b32 s8, -1, 0
	s_delay_alu instid0(SALU_CYCLE_1)
	s_and_b32 vcc_lo, exec_lo, s8
	s_cbranch_vccz .LBB9_3
	s_branch .LBB9_19
.LBB9_18:
	s_mov_b32 s1, s24
.LBB9_19:
	s_cmp_lt_i32 s6, s24
	v_cmp_gt_i32_e32 vcc_lo, s25, v1
	s_cselect_b32 s0, -1, 0
	s_cmp_eq_u32 s6, s1
	s_cselect_b32 s1, -1, 0
	s_delay_alu instid0(SALU_CYCLE_1) | instskip(SKIP_2) | instid1(SALU_CYCLE_1)
	s_and_b32 s1, vcc_lo, s1
	s_cmp_gt_i32 s18, 0
	s_cselect_b32 s8, -1, 0
	s_and_b32 s1, s1, s8
	s_mov_b32 s8, 0
	s_and_b32 s9, s1, s0
	s_wait_xcnt 0x0
	s_and_saveexec_b32 s1, s9
	s_cbranch_execz .LBB9_34
; %bb.20:
	v_add_nc_u32_e32 v4, s7, v3
	s_cmp_eq_u32 s13, 0
	s_mul_i32 s10, s23, s18
	s_cselect_b32 s9, -1, 0
	s_cmp_lg_u32 s14, 0
	v_mad_u32 v5, s22, v4, s22
	v_add_nc_u32_e32 v4, 1, v3
	s_cselect_b32 s11, -1, 0
	s_lshl_b32 s13, s22, 3
	s_mul_i32 s14, s23, s26
	s_mov_b32 s23, 0
	s_delay_alu instid0(VALU_DEP_2)
	v_add3_u32 v5, v2, v5, s19
	s_add_co_i32 s19, s18, 1
	s_branch .LBB9_22
.LBB9_21:                               ;   in Loop: Header=BB9_22 Depth=1
	s_or_b32 exec_lo, exec_lo, s24
	v_add_nc_u32_e32 v5, s22, v5
	s_add_co_i32 s8, s8, 1
	s_add_co_i32 s14, s14, s19
	s_cmp_eq_u32 s8, s18
	s_cbranch_scc1 .LBB9_33
.LBB9_22:                               ; =>This Loop Header: Depth=1
                                        ;     Child Loop BB9_29 Depth 2
	v_mov_b32_e32 v7, 1.0
	s_and_not1_b32 vcc_lo, exec_lo, s9
	s_cbranch_vccnz .LBB9_24
; %bb.23:                               ;   in Loop: Header=BB9_22 Depth=1
	s_add_co_i32 s24, s8, s10
	s_delay_alu instid0(SALU_CYCLE_1) | instskip(NEXT) | instid1(SALU_CYCLE_1)
	s_mul_i32 s24, s24, s18
	s_add_co_i32 s24, s24, s8
	s_delay_alu instid0(SALU_CYCLE_1)
	v_mov_b32_e32 v2, s24
	global_load_b32 v7, v2, s[16:17] scale_offset
.LBB9_24:                               ;   in Loop: Header=BB9_22 Depth=1
	s_add_co_i32 s24, s8, s7
	s_wait_loadcnt 0x0
	v_cmp_eq_f32_e32 vcc_lo, 0, v7
	s_wait_xcnt 0x0
	v_mad_u32 v2, s24, s22, v1
	global_load_b32 v6, v2, s[20:21] scale_offset
	s_cbranch_vccnz .LBB9_26
; %bb.25:                               ;   in Loop: Header=BB9_22 Depth=1
	s_wait_loadcnt 0x0
	v_div_scale_f32 v3, null, v7, v7, v6
	s_delay_alu instid0(VALU_DEP_1) | instskip(SKIP_1) | instid1(TRANS32_DEP_1)
	v_rcp_f32_e32 v8, v3
	v_nop
	v_fma_f32 v9, -v3, v8, 1.0
	s_delay_alu instid0(VALU_DEP_1) | instskip(SKIP_1) | instid1(VALU_DEP_1)
	v_fmac_f32_e32 v8, v9, v8
	v_div_scale_f32 v9, vcc_lo, v6, v7, v6
	v_mul_f32_e32 v10, v9, v8
	s_delay_alu instid0(VALU_DEP_1) | instskip(NEXT) | instid1(VALU_DEP_1)
	v_fma_f32 v11, -v3, v10, v9
	v_fmac_f32_e32 v10, v11, v8
	s_delay_alu instid0(VALU_DEP_1) | instskip(SKIP_1) | instid1(VALU_DEP_2)
	v_fma_f32 v9, -v3, v10, v9
	v_ashrrev_i32_e32 v3, 31, v2
	v_div_fmas_f32 v8, v9, v8, v10
	s_wait_xcnt 0x0
	s_delay_alu instid0(VALU_DEP_2) | instskip(NEXT) | instid1(VALU_DEP_2)
	v_lshl_add_u64 v[2:3], v[2:3], 2, s[20:21]
	v_div_fixup_f32 v6, v8, v7, v6
	global_store_b32 v[2:3], v6, off
	s_wait_xcnt 0x0
	v_add_nc_u32_e32 v2, s8, v4
	s_mov_b32 s24, exec_lo
	s_delay_alu instid0(VALU_DEP_1)
	v_cmpx_gt_i32_e64 s18, v2
	s_cbranch_execz .LBB9_21
	s_branch .LBB9_27
.LBB9_26:                               ;   in Loop: Header=BB9_22 Depth=1
	s_mov_b32 s23, -1
	s_wait_xcnt 0x0
	v_add_nc_u32_e32 v2, s8, v4
	s_mov_b32 s24, exec_lo
	s_delay_alu instid0(VALU_DEP_1)
	v_cmpx_gt_i32_e64 s18, v2
	s_cbranch_execz .LBB9_21
.LBB9_27:                               ;   in Loop: Header=BB9_22 Depth=1
	v_dual_mov_b32 v3, v5 :: v_dual_mov_b32 v7, v4
	s_mov_b32 s25, 0
	s_branch .LBB9_29
.LBB9_28:                               ;   in Loop: Header=BB9_29 Depth=2
	global_load_b32 v9, v8, s[16:17] scale_offset
	global_load_b32 v10, v3, s[20:21] scale_offset
	v_dual_add_nc_u32 v7, 8, v7 :: v_dual_add_nc_u32 v2, 8, v2
	s_wait_loadcnt 0x0
	s_wait_xcnt 0x1
	s_delay_alu instid0(VALU_DEP_1)
	v_dual_fma_f32 v9, -v6, v9, v10 :: v_dual_add_nc_u32 v8, s8, v7
	global_store_b32 v3, v9, s[20:21] scale_offset
	v_cmp_le_i32_e32 vcc_lo, s18, v8
	s_wait_xcnt 0x0
	v_add_nc_u32_e32 v3, s13, v3
	s_or_b32 s25, vcc_lo, s25
	s_delay_alu instid0(SALU_CYCLE_1)
	s_and_not1_b32 exec_lo, exec_lo, s25
	s_cbranch_execz .LBB9_21
.LBB9_29:                               ;   Parent Loop BB9_22 Depth=1
                                        ; =>  This Inner Loop Header: Depth=2
	s_and_b32 vcc_lo, exec_lo, s11
	s_cbranch_vccz .LBB9_31
; %bb.30:                               ;   in Loop: Header=BB9_29 Depth=2
	v_add_nc_u32_e32 v8, s14, v7
	s_cbranch_execnz .LBB9_28
	s_branch .LBB9_32
.LBB9_31:                               ;   in Loop: Header=BB9_29 Depth=2
                                        ; implicit-def: $vgpr8
.LBB9_32:                               ;   in Loop: Header=BB9_29 Depth=2
	v_add_nc_u32_e32 v8, s10, v2
	s_delay_alu instid0(VALU_DEP_1)
	v_mad_u32 v8, v8, s18, s8
	s_branch .LBB9_28
.LBB9_33:
	s_and_b32 s8, s23, exec_lo
.LBB9_34:
	s_or_b32 exec_lo, exec_lo, s1
	v_cmp_eq_u32_e32 vcc_lo, 0, v0
	global_wb scope:SCOPE_DEV
	s_wait_loadcnt 0x0
	s_wait_storecnt 0x0
	global_inv scope:SCOPE_DEV
	s_wait_loadcnt 0x0
	s_barrier_signal -1
	s_barrier_wait -1
	s_and_b32 s0, vcc_lo, s0
	s_delay_alu instid0(SALU_CYCLE_1)
	s_and_saveexec_b32 s1, s0
	s_cbranch_execz .LBB9_38
; %bb.35:
	s_add_co_i32 s0, s6, s15
	s_delay_alu instid0(SALU_CYCLE_1)
	v_dual_mov_b32 v0, 1 :: v_dual_mov_b32 v1, s0
	global_store_b32 v1, v0, s[4:5] scale_offset scope:SCOPE_DEV
	s_wait_xcnt 0x0
	s_and_b32 exec_lo, exec_lo, s8
	s_cbranch_execz .LBB9_38
; %bb.36:
	v_mbcnt_lo_u32_b32 v0, exec_lo, 0
	s_delay_alu instid0(VALU_DEP_1)
	v_cmp_eq_u32_e32 vcc_lo, 0, v0
	s_and_b32 exec_lo, exec_lo, vcc_lo
	s_cbranch_execz .LBB9_38
; %bb.37:
	s_add_co_i32 s0, s6, s12
	s_delay_alu instid0(SALU_CYCLE_1)
	v_dual_mov_b32 v0, 0 :: v_dual_mov_b32 v1, s0
	global_atomic_min_i32 v0, v1, s[2:3] scope:SCOPE_DEV
.LBB9_38:
	s_endpgm
	.section	.rodata,"a",@progbits
	.p2align	6, 0x0
	.amdhsa_kernel _ZN9rocsparseL24bsrsm_lower_large_kernelILj128ELj16ELb0EfEEviiPKiS2_PKT2_iPS3_iPiS2_S7_21rocsparse_index_base_20rocsparse_diag_type_20rocsparse_direction_
		.amdhsa_group_segment_fixed_size 0
		.amdhsa_private_segment_fixed_size 0
		.amdhsa_kernarg_size 92
		.amdhsa_user_sgpr_count 2
		.amdhsa_user_sgpr_dispatch_ptr 0
		.amdhsa_user_sgpr_queue_ptr 0
		.amdhsa_user_sgpr_kernarg_segment_ptr 1
		.amdhsa_user_sgpr_dispatch_id 0
		.amdhsa_user_sgpr_kernarg_preload_length 0
		.amdhsa_user_sgpr_kernarg_preload_offset 0
		.amdhsa_user_sgpr_private_segment_size 0
		.amdhsa_wavefront_size32 1
		.amdhsa_uses_dynamic_stack 0
		.amdhsa_enable_private_segment 0
		.amdhsa_system_sgpr_workgroup_id_x 1
		.amdhsa_system_sgpr_workgroup_id_y 0
		.amdhsa_system_sgpr_workgroup_id_z 0
		.amdhsa_system_sgpr_workgroup_info 0
		.amdhsa_system_vgpr_workitem_id 0
		.amdhsa_next_free_vgpr 14
		.amdhsa_next_free_sgpr 36
		.amdhsa_named_barrier_count 0
		.amdhsa_reserve_vcc 1
		.amdhsa_float_round_mode_32 0
		.amdhsa_float_round_mode_16_64 0
		.amdhsa_float_denorm_mode_32 3
		.amdhsa_float_denorm_mode_16_64 3
		.amdhsa_fp16_overflow 0
		.amdhsa_memory_ordered 1
		.amdhsa_forward_progress 1
		.amdhsa_inst_pref_size 13
		.amdhsa_round_robin_scheduling 0
		.amdhsa_exception_fp_ieee_invalid_op 0
		.amdhsa_exception_fp_denorm_src 0
		.amdhsa_exception_fp_ieee_div_zero 0
		.amdhsa_exception_fp_ieee_overflow 0
		.amdhsa_exception_fp_ieee_underflow 0
		.amdhsa_exception_fp_ieee_inexact 0
		.amdhsa_exception_int_div_zero 0
	.end_amdhsa_kernel
	.section	.text._ZN9rocsparseL24bsrsm_lower_large_kernelILj128ELj16ELb0EfEEviiPKiS2_PKT2_iPS3_iPiS2_S7_21rocsparse_index_base_20rocsparse_diag_type_20rocsparse_direction_,"axG",@progbits,_ZN9rocsparseL24bsrsm_lower_large_kernelILj128ELj16ELb0EfEEviiPKiS2_PKT2_iPS3_iPiS2_S7_21rocsparse_index_base_20rocsparse_diag_type_20rocsparse_direction_,comdat
.Lfunc_end9:
	.size	_ZN9rocsparseL24bsrsm_lower_large_kernelILj128ELj16ELb0EfEEviiPKiS2_PKT2_iPS3_iPiS2_S7_21rocsparse_index_base_20rocsparse_diag_type_20rocsparse_direction_, .Lfunc_end9-_ZN9rocsparseL24bsrsm_lower_large_kernelILj128ELj16ELb0EfEEviiPKiS2_PKT2_iPS3_iPiS2_S7_21rocsparse_index_base_20rocsparse_diag_type_20rocsparse_direction_
                                        ; -- End function
	.set _ZN9rocsparseL24bsrsm_lower_large_kernelILj128ELj16ELb0EfEEviiPKiS2_PKT2_iPS3_iPiS2_S7_21rocsparse_index_base_20rocsparse_diag_type_20rocsparse_direction_.num_vgpr, 14
	.set _ZN9rocsparseL24bsrsm_lower_large_kernelILj128ELj16ELb0EfEEviiPKiS2_PKT2_iPS3_iPiS2_S7_21rocsparse_index_base_20rocsparse_diag_type_20rocsparse_direction_.num_agpr, 0
	.set _ZN9rocsparseL24bsrsm_lower_large_kernelILj128ELj16ELb0EfEEviiPKiS2_PKT2_iPS3_iPiS2_S7_21rocsparse_index_base_20rocsparse_diag_type_20rocsparse_direction_.numbered_sgpr, 36
	.set _ZN9rocsparseL24bsrsm_lower_large_kernelILj128ELj16ELb0EfEEviiPKiS2_PKT2_iPS3_iPiS2_S7_21rocsparse_index_base_20rocsparse_diag_type_20rocsparse_direction_.num_named_barrier, 0
	.set _ZN9rocsparseL24bsrsm_lower_large_kernelILj128ELj16ELb0EfEEviiPKiS2_PKT2_iPS3_iPiS2_S7_21rocsparse_index_base_20rocsparse_diag_type_20rocsparse_direction_.private_seg_size, 0
	.set _ZN9rocsparseL24bsrsm_lower_large_kernelILj128ELj16ELb0EfEEviiPKiS2_PKT2_iPS3_iPiS2_S7_21rocsparse_index_base_20rocsparse_diag_type_20rocsparse_direction_.uses_vcc, 1
	.set _ZN9rocsparseL24bsrsm_lower_large_kernelILj128ELj16ELb0EfEEviiPKiS2_PKT2_iPS3_iPiS2_S7_21rocsparse_index_base_20rocsparse_diag_type_20rocsparse_direction_.uses_flat_scratch, 0
	.set _ZN9rocsparseL24bsrsm_lower_large_kernelILj128ELj16ELb0EfEEviiPKiS2_PKT2_iPS3_iPiS2_S7_21rocsparse_index_base_20rocsparse_diag_type_20rocsparse_direction_.has_dyn_sized_stack, 0
	.set _ZN9rocsparseL24bsrsm_lower_large_kernelILj128ELj16ELb0EfEEviiPKiS2_PKT2_iPS3_iPiS2_S7_21rocsparse_index_base_20rocsparse_diag_type_20rocsparse_direction_.has_recursion, 0
	.set _ZN9rocsparseL24bsrsm_lower_large_kernelILj128ELj16ELb0EfEEviiPKiS2_PKT2_iPS3_iPiS2_S7_21rocsparse_index_base_20rocsparse_diag_type_20rocsparse_direction_.has_indirect_call, 0
	.section	.AMDGPU.csdata,"",@progbits
; Kernel info:
; codeLenInByte = 1612
; TotalNumSgprs: 38
; NumVgprs: 14
; ScratchSize: 0
; MemoryBound: 0
; FloatMode: 240
; IeeeMode: 1
; LDSByteSize: 0 bytes/workgroup (compile time only)
; SGPRBlocks: 0
; VGPRBlocks: 0
; NumSGPRsForWavesPerEU: 38
; NumVGPRsForWavesPerEU: 14
; NamedBarCnt: 0
; Occupancy: 16
; WaveLimiterHint : 1
; COMPUTE_PGM_RSRC2:SCRATCH_EN: 0
; COMPUTE_PGM_RSRC2:USER_SGPR: 2
; COMPUTE_PGM_RSRC2:TRAP_HANDLER: 0
; COMPUTE_PGM_RSRC2:TGID_X_EN: 1
; COMPUTE_PGM_RSRC2:TGID_Y_EN: 0
; COMPUTE_PGM_RSRC2:TGID_Z_EN: 0
; COMPUTE_PGM_RSRC2:TIDIG_COMP_CNT: 0
	.section	.text._ZN9rocsparseL24bsrsm_upper_large_kernelILj256ELj16ELb0EfEEviiPKiS2_PKT2_iPS3_iPiS2_S7_21rocsparse_index_base_20rocsparse_diag_type_20rocsparse_direction_,"axG",@progbits,_ZN9rocsparseL24bsrsm_upper_large_kernelILj256ELj16ELb0EfEEviiPKiS2_PKT2_iPS3_iPiS2_S7_21rocsparse_index_base_20rocsparse_diag_type_20rocsparse_direction_,comdat
	.globl	_ZN9rocsparseL24bsrsm_upper_large_kernelILj256ELj16ELb0EfEEviiPKiS2_PKT2_iPS3_iPiS2_S7_21rocsparse_index_base_20rocsparse_diag_type_20rocsparse_direction_ ; -- Begin function _ZN9rocsparseL24bsrsm_upper_large_kernelILj256ELj16ELb0EfEEviiPKiS2_PKT2_iPS3_iPiS2_S7_21rocsparse_index_base_20rocsparse_diag_type_20rocsparse_direction_
	.p2align	8
	.type	_ZN9rocsparseL24bsrsm_upper_large_kernelILj256ELj16ELb0EfEEviiPKiS2_PKT2_iPS3_iPiS2_S7_21rocsparse_index_base_20rocsparse_diag_type_20rocsparse_direction_,@function
_ZN9rocsparseL24bsrsm_upper_large_kernelILj256ELj16ELb0EfEEviiPKiS2_PKT2_iPS3_iPiS2_S7_21rocsparse_index_base_20rocsparse_diag_type_20rocsparse_direction_: ; @_ZN9rocsparseL24bsrsm_upper_large_kernelILj256ELj16ELb0EfEEviiPKiS2_PKT2_iPS3_iPiS2_S7_21rocsparse_index_base_20rocsparse_diag_type_20rocsparse_direction_
; %bb.0:
	s_clause 0x1
	s_load_b64 s[24:25], s[0:1], 0x0
	s_load_b128 s[8:11], s[0:1], 0x8
	s_bfe_u32 s4, ttmp6, 0x4000c
	s_and_b32 s3, ttmp6, 15
	s_add_co_i32 s4, s4, 1
	s_getreg_b32 s5, hwreg(HW_REG_IB_STS2, 6, 4)
	s_mul_i32 s4, ttmp9, s4
	v_dual_lshrrev_b32 v2, 4, v0 :: v_dual_bitop2_b32 v4, 15, v0 bitop3:0x40
	s_add_co_i32 s3, s3, s4
	s_wait_kmcnt 0x0
	s_cvt_f32_u32 s2, s24
	s_sub_co_i32 s6, 0, s24
	s_delay_alu instid0(SALU_CYCLE_2) | instskip(SKIP_1) | instid1(TRANS32_DEP_1)
	v_rcp_iflag_f32_e32 v1, s2
	v_nop
	v_readfirstlane_b32 s2, v1
	s_mul_f32 s2, s2, 0x4f7ffffe
	s_delay_alu instid0(SALU_CYCLE_3) | instskip(NEXT) | instid1(SALU_CYCLE_3)
	s_cvt_u32_f32 s2, s2
	s_mul_i32 s6, s6, s2
	s_delay_alu instid0(SALU_CYCLE_1) | instskip(NEXT) | instid1(SALU_CYCLE_1)
	s_mul_hi_u32 s6, s2, s6
	s_add_co_i32 s2, s2, s6
	s_cmp_eq_u32 s5, 0
	s_load_b128 s[4:7], s[0:1], 0x38
	s_cselect_b32 s3, ttmp9, s3
	s_delay_alu instid0(SALU_CYCLE_1) | instskip(NEXT) | instid1(SALU_CYCLE_1)
	s_mul_hi_u32 s2, s3, s2
	s_mul_i32 s12, s2, s24
	s_add_co_i32 s13, s2, 1
	s_sub_co_i32 s12, s3, s12
	s_delay_alu instid0(SALU_CYCLE_1)
	s_sub_co_i32 s14, s12, s24
	s_cmp_ge_u32 s12, s24
	s_cselect_b32 s2, s13, s2
	s_cselect_b32 s12, s14, s12
	s_add_co_i32 s13, s2, 1
	s_cmp_ge_u32 s12, s24
	s_cselect_b32 s19, s13, s2
	s_delay_alu instid0(SALU_CYCLE_1) | instskip(SKIP_4) | instid1(SALU_CYCLE_1)
	s_mul_i32 s15, s19, s24
	s_lshl_b32 s19, s19, 4
	s_sub_co_i32 s2, s3, s15
	v_or_b32_e32 v1, s19, v2
	s_ashr_i32 s3, s2, 31
	s_lshl_b64 s[12:13], s[2:3], 2
	s_load_b64 s[2:3], s[0:1], 0x48
	s_wait_kmcnt 0x0
	s_add_nc_u64 s[6:7], s[6:7], s[12:13]
	s_load_b96 s[12:14], s[0:1], 0x50
	v_cmp_gt_i32_e32 vcc_lo, s25, v1
	s_load_b32 s6, s[6:7], 0x0
	s_wait_kmcnt 0x0
	s_ashr_i32 s7, s6, 31
	s_delay_alu instid0(SALU_CYCLE_1) | instskip(NEXT) | instid1(SALU_CYCLE_1)
	s_lshl_b64 s[16:17], s[6:7], 2
	s_add_nc_u64 s[8:9], s[8:9], s[16:17]
	s_load_b64 s[26:27], s[8:9], 0x0
	s_clause 0x1
	s_load_b96 s[16:18], s[0:1], 0x18
	s_load_b96 s[20:22], s[0:1], 0x28
	s_wait_xcnt 0x0
	s_not_b32 s0, s12
	s_wait_kmcnt 0x0
	s_add_co_i32 s23, s27, s0
	v_cmp_eq_u32_e64 s0, 0, v0
	s_sub_co_i32 s26, s26, s12
	s_mul_i32 s7, s6, s18
	s_cmp_lt_i32 s23, s26
	s_cbranch_scc1 .LBB10_18
; %bb.1:
	v_mad_u32 v3, s18, s23, v4
	v_cmp_gt_i32_e64 s1, s18, v4
	v_mov_b32_e32 v5, 0
	s_cmp_lg_u32 s14, 0
	s_mul_i32 s29, s22, s18
	s_cselect_b32 s27, -1, 0
	s_and_b32 s1, vcc_lo, s1
	s_mul_i32 s30, s18, s18
	s_lshl_b32 s31, s18, 4
	v_mul_lo_u32 v3, s18, v3
	s_branch .LBB10_3
.LBB10_2:                               ;   in Loop: Header=BB10_3 Depth=1
                                        ; implicit-def: $vgpr3
	s_cbranch_execnz .LBB10_19
.LBB10_3:                               ; =>This Loop Header: Depth=1
                                        ;     Child Loop BB10_7 Depth 2
                                        ;     Child Loop BB10_11 Depth 2
                                        ;       Child Loop BB10_13 Depth 3
	s_wait_xcnt 0x0
	v_mov_b32_e32 v6, s23
	global_load_b32 v6, v6, s[10:11] scale_offset
	s_wait_loadcnt 0x0
	v_readfirstlane_b32 s8, v6
	s_sub_co_i32 s28, s8, s12
	s_delay_alu instid0(SALU_CYCLE_1)
	s_cmp_le_i32 s28, s6
	s_cbranch_scc1 .LBB10_2
; %bb.4:                                ;   in Loop: Header=BB10_3 Depth=1
	s_wait_xcnt 0x0
	s_and_saveexec_b32 s33, s0
	s_cbranch_execz .LBB10_8
; %bb.5:                                ;   in Loop: Header=BB10_3 Depth=1
	s_add_co_i32 s8, s28, s15
	s_delay_alu instid0(SALU_CYCLE_1)
	v_mov_b32_e32 v6, s8
	global_load_b32 v6, v6, s[4:5] scale_offset scope:SCOPE_DEV
	s_wait_loadcnt 0x0
	v_cmp_ne_u32_e32 vcc_lo, 0, v6
	s_cbranch_vccnz .LBB10_8
; %bb.6:                                ;   in Loop: Header=BB10_3 Depth=1
	s_ashr_i32 s9, s8, 31
	s_delay_alu instid0(SALU_CYCLE_1) | instskip(NEXT) | instid1(SALU_CYCLE_1)
	s_lshl_b64 s[8:9], s[8:9], 2
	s_add_nc_u64 s[8:9], s[4:5], s[8:9]
.LBB10_7:                               ;   Parent Loop BB10_3 Depth=1
                                        ; =>  This Inner Loop Header: Depth=2
	global_load_b32 v6, v5, s[8:9] scope:SCOPE_DEV
	s_wait_loadcnt 0x0
	v_cmp_eq_u32_e32 vcc_lo, 0, v6
	s_cbranch_vccnz .LBB10_7
.LBB10_8:                               ;   in Loop: Header=BB10_3 Depth=1
	s_wait_xcnt 0x0
	s_or_b32 exec_lo, exec_lo, s33
	global_wb scope:SCOPE_DEV
	s_wait_storecnt 0x0
	global_inv scope:SCOPE_DEV
	s_wait_loadcnt 0x0
	s_barrier_signal -1
	s_barrier_wait -1
	s_and_saveexec_b32 s8, s1
	s_cbranch_execz .LBB10_17
; %bb.9:                                ;   in Loop: Header=BB10_3 Depth=1
	v_mad_u32 v6, s29, s28, v1
	v_dual_mov_b32 v7, v3 :: v_dual_mov_b32 v8, v4
	s_mul_i32 s9, s23, s18
	s_mov_b32 s33, 0
	s_branch .LBB10_11
.LBB10_10:                              ;   in Loop: Header=BB10_11 Depth=2
	v_dual_add_nc_u32 v10, s7, v8 :: v_dual_add_nc_u32 v8, 16, v8
	v_add_nc_u32_e32 v7, s31, v7
	s_delay_alu instid0(VALU_DEP_2) | instskip(NEXT) | instid1(VALU_DEP_3)
	v_mad_u32 v10, v10, s22, v1
	v_cmp_le_i32_e32 vcc_lo, s18, v8
	s_or_b32 s33, vcc_lo, s33
	global_load_b32 v11, v10, s[20:21] scale_offset
	s_wait_loadcnt 0x0
	v_sub_f32_e32 v9, v11, v9
	global_store_b32 v10, v9, s[20:21] scale_offset
	s_wait_xcnt 0x0
	s_and_not1_b32 exec_lo, exec_lo, s33
	s_cbranch_execz .LBB10_17
.LBB10_11:                              ;   Parent Loop BB10_3 Depth=1
                                        ; =>  This Loop Header: Depth=2
                                        ;       Child Loop BB10_13 Depth 3
	s_delay_alu instid0(VALU_DEP_2)
	v_dual_mov_b32 v9, 0 :: v_dual_mov_b32 v10, v6
	s_mov_b32 s34, 0
	s_branch .LBB10_13
.LBB10_12:                              ;   in Loop: Header=BB10_13 Depth=3
	global_load_b32 v12, v11, s[16:17] scale_offset
	global_load_b32 v13, v10, s[20:21] scale_offset
	s_add_co_i32 s34, s34, 1
	s_wait_xcnt 0x0
	v_add_nc_u32_e32 v10, s22, v10
	s_cmp_eq_u32 s18, s34
	s_wait_loadcnt 0x0
	v_fmac_f32_e32 v9, v12, v13
	s_cbranch_scc1 .LBB10_10
.LBB10_13:                              ;   Parent Loop BB10_3 Depth=1
                                        ;     Parent Loop BB10_11 Depth=2
                                        ; =>    This Inner Loop Header: Depth=3
	s_and_b32 vcc_lo, exec_lo, s27
	s_cbranch_vccz .LBB10_15
; %bb.14:                               ;   in Loop: Header=BB10_13 Depth=3
	s_add_co_i32 s35, s34, s9
	s_delay_alu instid0(SALU_CYCLE_1)
	v_mad_u32 v11, s35, s18, v8
	s_cbranch_execnz .LBB10_12
	s_branch .LBB10_16
.LBB10_15:                              ;   in Loop: Header=BB10_13 Depth=3
                                        ; implicit-def: $vgpr11
.LBB10_16:                              ;   in Loop: Header=BB10_13 Depth=3
	v_add_nc_u32_e32 v11, s34, v7
	s_branch .LBB10_12
.LBB10_17:                              ;   in Loop: Header=BB10_3 Depth=1
	s_or_b32 exec_lo, exec_lo, s8
	s_add_co_i32 s9, s23, -1
	s_cmp_le_i32 s23, s26
	v_subrev_nc_u32_e32 v3, s30, v3
	s_cselect_b32 s8, -1, 0
	s_mov_b32 s23, s9
	s_and_b32 vcc_lo, exec_lo, s8
	s_cbranch_vccz .LBB10_3
	s_branch .LBB10_19
.LBB10_18:
	s_mov_b32 s28, s24
.LBB10_19:
	s_cmp_lt_i32 s6, s24
	v_cmp_gt_i32_e32 vcc_lo, s25, v1
	s_cselect_b32 s0, -1, 0
	s_cmp_eq_u32 s6, s28
	s_cselect_b32 s1, -1, 0
	s_delay_alu instid0(SALU_CYCLE_1) | instskip(SKIP_2) | instid1(SALU_CYCLE_1)
	s_and_b32 s1, vcc_lo, s1
	s_cmp_gt_i32 s18, 0
	s_cselect_b32 s8, -1, 0
	s_and_b32 s1, s1, s8
	s_mov_b32 s8, 0
	s_and_b32 s9, s1, s0
	s_wait_xcnt 0x0
	s_and_saveexec_b32 s1, s9
	s_cbranch_execz .LBB10_35
; %bb.20:
	v_add_nc_u32_e32 v3, s7, v4
	s_cmp_eq_u32 s13, 0
	s_mov_b32 s10, 0
	s_cselect_b32 s8, -1, 0
	s_cmp_lg_u32 s14, 0
	v_mul_lo_u32 v3, s22, v3
	s_cselect_b32 s9, -1, 0
	s_add_co_i32 s11, s23, 1
	s_delay_alu instid0(SALU_CYCLE_1) | instskip(SKIP_4) | instid1(VALU_DEP_1)
	s_mul_i32 s13, s18, s11
	s_mul_i32 s11, s23, s18
	s_add_co_i32 s14, s13, -1
	s_lshl_b32 s13, s22, 4
	s_mul_i32 s14, s18, s14
	v_add3_u32 v5, v2, v3, s19
	s_mov_b32 s19, s18
	v_mov_b32_e32 v7, 1.0
	s_and_not1_b32 vcc_lo, exec_lo, s8
	s_add_co_i32 s23, s19, -1
	s_cbranch_vccnz .LBB10_22
.LBB10_21:
	s_add_co_i32 s24, s23, s11
	s_delay_alu instid0(SALU_CYCLE_1) | instskip(NEXT) | instid1(SALU_CYCLE_1)
	s_mul_i32 s24, s24, s18
	s_add_co_i32 s24, s24, s23
	s_delay_alu instid0(SALU_CYCLE_1)
	v_mov_b32_e32 v2, s24
	global_load_b32 v7, v2, s[16:17] scale_offset
.LBB10_22:                              ; =>This Loop Header: Depth=1
                                        ;     Child Loop BB10_27 Depth 2
	s_add_co_i32 s24, s23, s7
	s_wait_loadcnt 0x0
	v_cmp_eq_f32_e32 vcc_lo, 0, v7
	s_wait_xcnt 0x0
	v_mad_u32 v2, s24, s22, v1
	global_load_b32 v6, v2, s[20:21] scale_offset
	s_cbranch_vccnz .LBB10_24
; %bb.23:                               ;   in Loop: Header=BB10_22 Depth=1
	s_wait_loadcnt 0x0
	v_div_scale_f32 v3, null, v7, v7, v6
	s_delay_alu instid0(VALU_DEP_1) | instskip(SKIP_1) | instid1(TRANS32_DEP_1)
	v_rcp_f32_e32 v8, v3
	v_nop
	v_fma_f32 v9, -v3, v8, 1.0
	s_delay_alu instid0(VALU_DEP_1) | instskip(SKIP_1) | instid1(VALU_DEP_1)
	v_fmac_f32_e32 v8, v9, v8
	v_div_scale_f32 v9, vcc_lo, v6, v7, v6
	v_mul_f32_e32 v10, v9, v8
	s_delay_alu instid0(VALU_DEP_1) | instskip(NEXT) | instid1(VALU_DEP_1)
	v_fma_f32 v11, -v3, v10, v9
	v_fmac_f32_e32 v10, v11, v8
	s_delay_alu instid0(VALU_DEP_1) | instskip(SKIP_1) | instid1(VALU_DEP_2)
	v_fma_f32 v9, -v3, v10, v9
	v_ashrrev_i32_e32 v3, 31, v2
	v_div_fmas_f32 v8, v9, v8, v10
	s_wait_xcnt 0x0
	s_delay_alu instid0(VALU_DEP_2) | instskip(NEXT) | instid1(VALU_DEP_2)
	v_lshl_add_u64 v[2:3], v[2:3], 2, s[20:21]
	v_div_fixup_f32 v6, v8, v7, v6
	global_store_b32 v[2:3], v6, off
	s_mov_b32 s24, exec_lo
	s_wait_xcnt 0x0
	v_cmpx_gt_i32_e64 s23, v4
	s_cbranch_execnz .LBB10_25
	s_branch .LBB10_31
.LBB10_24:                              ;   in Loop: Header=BB10_22 Depth=1
	s_mov_b32 s10, -1
	s_mov_b32 s24, exec_lo
	s_wait_xcnt 0x0
	v_cmpx_gt_i32_e64 s23, v4
	s_cbranch_execz .LBB10_31
.LBB10_25:                              ;   in Loop: Header=BB10_22 Depth=1
	v_dual_mov_b32 v2, v5 :: v_dual_mov_b32 v3, v4
	s_mov_b32 s25, 0
	s_branch .LBB10_27
.LBB10_26:                              ;   in Loop: Header=BB10_27 Depth=2
	global_load_b32 v8, v7, s[16:17] scale_offset
	global_load_b32 v9, v2, s[20:21] scale_offset
	s_wait_loadcnt 0x0
	s_wait_xcnt 0x1
	v_dual_add_nc_u32 v3, 16, v3 :: v_dual_fma_f32 v7, -v6, v8, v9
	s_delay_alu instid0(VALU_DEP_1) | instskip(SKIP_4) | instid1(SALU_CYCLE_1)
	v_cmp_le_i32_e32 vcc_lo, s23, v3
	global_store_b32 v2, v7, s[20:21] scale_offset
	s_wait_xcnt 0x0
	v_add_nc_u32_e32 v2, s13, v2
	s_or_b32 s25, vcc_lo, s25
	s_and_not1_b32 exec_lo, exec_lo, s25
	s_cbranch_execz .LBB10_31
.LBB10_27:                              ;   Parent Loop BB10_22 Depth=1
                                        ; =>  This Inner Loop Header: Depth=2
	s_and_b32 vcc_lo, exec_lo, s9
	s_cbranch_vccz .LBB10_29
; %bb.28:                               ;   in Loop: Header=BB10_27 Depth=2
	v_add_nc_u32_e32 v7, s14, v3
	s_cbranch_execnz .LBB10_26
	s_branch .LBB10_30
.LBB10_29:                              ;   in Loop: Header=BB10_27 Depth=2
                                        ; implicit-def: $vgpr7
.LBB10_30:                              ;   in Loop: Header=BB10_27 Depth=2
	v_add_nc_u32_e32 v7, s11, v3
	s_delay_alu instid0(VALU_DEP_1)
	v_mad_u32 v7, v7, s18, s23
	s_branch .LBB10_26
.LBB10_31:                              ;   in Loop: Header=BB10_22 Depth=1
	s_or_b32 exec_lo, exec_lo, s24
; %bb.32:                               ;   in Loop: Header=BB10_22 Depth=1
	s_sub_co_i32 s14, s14, s18
	s_cmp_lt_i32 s19, 2
	s_cbranch_scc1 .LBB10_34
; %bb.33:                               ;   in Loop: Header=BB10_22 Depth=1
	s_mov_b32 s19, s23
	v_mov_b32_e32 v7, 1.0
	s_and_not1_b32 vcc_lo, exec_lo, s8
	s_add_co_i32 s23, s19, -1
	s_cbranch_vccnz .LBB10_22
	s_branch .LBB10_21
.LBB10_34:
	s_and_b32 s8, s10, exec_lo
.LBB10_35:
	s_or_b32 exec_lo, exec_lo, s1
	v_cmp_eq_u32_e32 vcc_lo, 0, v0
	global_wb scope:SCOPE_DEV
	s_wait_loadcnt 0x0
	s_wait_storecnt 0x0
	global_inv scope:SCOPE_DEV
	s_wait_loadcnt 0x0
	s_barrier_signal -1
	s_barrier_wait -1
	s_and_b32 s0, vcc_lo, s0
	s_delay_alu instid0(SALU_CYCLE_1)
	s_and_saveexec_b32 s1, s0
	s_cbranch_execz .LBB10_39
; %bb.36:
	s_add_co_i32 s0, s6, s15
	s_delay_alu instid0(SALU_CYCLE_1)
	v_dual_mov_b32 v0, 1 :: v_dual_mov_b32 v1, s0
	global_store_b32 v1, v0, s[4:5] scale_offset scope:SCOPE_DEV
	s_wait_xcnt 0x0
	s_and_b32 exec_lo, exec_lo, s8
	s_cbranch_execz .LBB10_39
; %bb.37:
	v_mbcnt_lo_u32_b32 v0, exec_lo, 0
	s_delay_alu instid0(VALU_DEP_1)
	v_cmp_eq_u32_e32 vcc_lo, 0, v0
	s_and_b32 exec_lo, exec_lo, vcc_lo
	s_cbranch_execz .LBB10_39
; %bb.38:
	s_add_co_i32 s0, s6, s12
	s_delay_alu instid0(SALU_CYCLE_1)
	v_dual_mov_b32 v0, 0 :: v_dual_mov_b32 v1, s0
	global_atomic_min_i32 v0, v1, s[2:3] scope:SCOPE_DEV
.LBB10_39:
	s_endpgm
	.section	.rodata,"a",@progbits
	.p2align	6, 0x0
	.amdhsa_kernel _ZN9rocsparseL24bsrsm_upper_large_kernelILj256ELj16ELb0EfEEviiPKiS2_PKT2_iPS3_iPiS2_S7_21rocsparse_index_base_20rocsparse_diag_type_20rocsparse_direction_
		.amdhsa_group_segment_fixed_size 0
		.amdhsa_private_segment_fixed_size 0
		.amdhsa_kernarg_size 92
		.amdhsa_user_sgpr_count 2
		.amdhsa_user_sgpr_dispatch_ptr 0
		.amdhsa_user_sgpr_queue_ptr 0
		.amdhsa_user_sgpr_kernarg_segment_ptr 1
		.amdhsa_user_sgpr_dispatch_id 0
		.amdhsa_user_sgpr_kernarg_preload_length 0
		.amdhsa_user_sgpr_kernarg_preload_offset 0
		.amdhsa_user_sgpr_private_segment_size 0
		.amdhsa_wavefront_size32 1
		.amdhsa_uses_dynamic_stack 0
		.amdhsa_enable_private_segment 0
		.amdhsa_system_sgpr_workgroup_id_x 1
		.amdhsa_system_sgpr_workgroup_id_y 0
		.amdhsa_system_sgpr_workgroup_id_z 0
		.amdhsa_system_sgpr_workgroup_info 0
		.amdhsa_system_vgpr_workitem_id 0
		.amdhsa_next_free_vgpr 14
		.amdhsa_next_free_sgpr 36
		.amdhsa_named_barrier_count 0
		.amdhsa_reserve_vcc 1
		.amdhsa_float_round_mode_32 0
		.amdhsa_float_round_mode_16_64 0
		.amdhsa_float_denorm_mode_32 3
		.amdhsa_float_denorm_mode_16_64 3
		.amdhsa_fp16_overflow 0
		.amdhsa_memory_ordered 1
		.amdhsa_forward_progress 1
		.amdhsa_inst_pref_size 13
		.amdhsa_round_robin_scheduling 0
		.amdhsa_exception_fp_ieee_invalid_op 0
		.amdhsa_exception_fp_denorm_src 0
		.amdhsa_exception_fp_ieee_div_zero 0
		.amdhsa_exception_fp_ieee_overflow 0
		.amdhsa_exception_fp_ieee_underflow 0
		.amdhsa_exception_fp_ieee_inexact 0
		.amdhsa_exception_int_div_zero 0
	.end_amdhsa_kernel
	.section	.text._ZN9rocsparseL24bsrsm_upper_large_kernelILj256ELj16ELb0EfEEviiPKiS2_PKT2_iPS3_iPiS2_S7_21rocsparse_index_base_20rocsparse_diag_type_20rocsparse_direction_,"axG",@progbits,_ZN9rocsparseL24bsrsm_upper_large_kernelILj256ELj16ELb0EfEEviiPKiS2_PKT2_iPS3_iPiS2_S7_21rocsparse_index_base_20rocsparse_diag_type_20rocsparse_direction_,comdat
.Lfunc_end10:
	.size	_ZN9rocsparseL24bsrsm_upper_large_kernelILj256ELj16ELb0EfEEviiPKiS2_PKT2_iPS3_iPiS2_S7_21rocsparse_index_base_20rocsparse_diag_type_20rocsparse_direction_, .Lfunc_end10-_ZN9rocsparseL24bsrsm_upper_large_kernelILj256ELj16ELb0EfEEviiPKiS2_PKT2_iPS3_iPiS2_S7_21rocsparse_index_base_20rocsparse_diag_type_20rocsparse_direction_
                                        ; -- End function
	.set _ZN9rocsparseL24bsrsm_upper_large_kernelILj256ELj16ELb0EfEEviiPKiS2_PKT2_iPS3_iPiS2_S7_21rocsparse_index_base_20rocsparse_diag_type_20rocsparse_direction_.num_vgpr, 14
	.set _ZN9rocsparseL24bsrsm_upper_large_kernelILj256ELj16ELb0EfEEviiPKiS2_PKT2_iPS3_iPiS2_S7_21rocsparse_index_base_20rocsparse_diag_type_20rocsparse_direction_.num_agpr, 0
	.set _ZN9rocsparseL24bsrsm_upper_large_kernelILj256ELj16ELb0EfEEviiPKiS2_PKT2_iPS3_iPiS2_S7_21rocsparse_index_base_20rocsparse_diag_type_20rocsparse_direction_.numbered_sgpr, 36
	.set _ZN9rocsparseL24bsrsm_upper_large_kernelILj256ELj16ELb0EfEEviiPKiS2_PKT2_iPS3_iPiS2_S7_21rocsparse_index_base_20rocsparse_diag_type_20rocsparse_direction_.num_named_barrier, 0
	.set _ZN9rocsparseL24bsrsm_upper_large_kernelILj256ELj16ELb0EfEEviiPKiS2_PKT2_iPS3_iPiS2_S7_21rocsparse_index_base_20rocsparse_diag_type_20rocsparse_direction_.private_seg_size, 0
	.set _ZN9rocsparseL24bsrsm_upper_large_kernelILj256ELj16ELb0EfEEviiPKiS2_PKT2_iPS3_iPiS2_S7_21rocsparse_index_base_20rocsparse_diag_type_20rocsparse_direction_.uses_vcc, 1
	.set _ZN9rocsparseL24bsrsm_upper_large_kernelILj256ELj16ELb0EfEEviiPKiS2_PKT2_iPS3_iPiS2_S7_21rocsparse_index_base_20rocsparse_diag_type_20rocsparse_direction_.uses_flat_scratch, 0
	.set _ZN9rocsparseL24bsrsm_upper_large_kernelILj256ELj16ELb0EfEEviiPKiS2_PKT2_iPS3_iPiS2_S7_21rocsparse_index_base_20rocsparse_diag_type_20rocsparse_direction_.has_dyn_sized_stack, 0
	.set _ZN9rocsparseL24bsrsm_upper_large_kernelILj256ELj16ELb0EfEEviiPKiS2_PKT2_iPS3_iPiS2_S7_21rocsparse_index_base_20rocsparse_diag_type_20rocsparse_direction_.has_recursion, 0
	.set _ZN9rocsparseL24bsrsm_upper_large_kernelILj256ELj16ELb0EfEEviiPKiS2_PKT2_iPS3_iPiS2_S7_21rocsparse_index_base_20rocsparse_diag_type_20rocsparse_direction_.has_indirect_call, 0
	.section	.AMDGPU.csdata,"",@progbits
; Kernel info:
; codeLenInByte = 1596
; TotalNumSgprs: 38
; NumVgprs: 14
; ScratchSize: 0
; MemoryBound: 0
; FloatMode: 240
; IeeeMode: 1
; LDSByteSize: 0 bytes/workgroup (compile time only)
; SGPRBlocks: 0
; VGPRBlocks: 0
; NumSGPRsForWavesPerEU: 38
; NumVGPRsForWavesPerEU: 14
; NamedBarCnt: 0
; Occupancy: 16
; WaveLimiterHint : 1
; COMPUTE_PGM_RSRC2:SCRATCH_EN: 0
; COMPUTE_PGM_RSRC2:USER_SGPR: 2
; COMPUTE_PGM_RSRC2:TRAP_HANDLER: 0
; COMPUTE_PGM_RSRC2:TGID_X_EN: 1
; COMPUTE_PGM_RSRC2:TGID_Y_EN: 0
; COMPUTE_PGM_RSRC2:TGID_Z_EN: 0
; COMPUTE_PGM_RSRC2:TIDIG_COMP_CNT: 0
	.section	.text._ZN9rocsparseL24bsrsm_lower_large_kernelILj256ELj16ELb0EfEEviiPKiS2_PKT2_iPS3_iPiS2_S7_21rocsparse_index_base_20rocsparse_diag_type_20rocsparse_direction_,"axG",@progbits,_ZN9rocsparseL24bsrsm_lower_large_kernelILj256ELj16ELb0EfEEviiPKiS2_PKT2_iPS3_iPiS2_S7_21rocsparse_index_base_20rocsparse_diag_type_20rocsparse_direction_,comdat
	.globl	_ZN9rocsparseL24bsrsm_lower_large_kernelILj256ELj16ELb0EfEEviiPKiS2_PKT2_iPS3_iPiS2_S7_21rocsparse_index_base_20rocsparse_diag_type_20rocsparse_direction_ ; -- Begin function _ZN9rocsparseL24bsrsm_lower_large_kernelILj256ELj16ELb0EfEEviiPKiS2_PKT2_iPS3_iPiS2_S7_21rocsparse_index_base_20rocsparse_diag_type_20rocsparse_direction_
	.p2align	8
	.type	_ZN9rocsparseL24bsrsm_lower_large_kernelILj256ELj16ELb0EfEEviiPKiS2_PKT2_iPS3_iPiS2_S7_21rocsparse_index_base_20rocsparse_diag_type_20rocsparse_direction_,@function
_ZN9rocsparseL24bsrsm_lower_large_kernelILj256ELj16ELb0EfEEviiPKiS2_PKT2_iPS3_iPiS2_S7_21rocsparse_index_base_20rocsparse_diag_type_20rocsparse_direction_: ; @_ZN9rocsparseL24bsrsm_lower_large_kernelILj256ELj16ELb0EfEEviiPKiS2_PKT2_iPS3_iPiS2_S7_21rocsparse_index_base_20rocsparse_diag_type_20rocsparse_direction_
; %bb.0:
	s_clause 0x1
	s_load_b64 s[24:25], s[0:1], 0x0
	s_load_b128 s[8:11], s[0:1], 0x8
	s_bfe_u32 s4, ttmp6, 0x4000c
	s_and_b32 s3, ttmp6, 15
	s_add_co_i32 s4, s4, 1
	s_getreg_b32 s5, hwreg(HW_REG_IB_STS2, 6, 4)
	s_mul_i32 s4, ttmp9, s4
	v_dual_lshrrev_b32 v2, 4, v0 :: v_dual_bitop2_b32 v3, 15, v0 bitop3:0x40
	s_add_co_i32 s3, s3, s4
	s_wait_kmcnt 0x0
	s_cvt_f32_u32 s2, s24
	s_sub_co_i32 s6, 0, s24
	s_delay_alu instid0(SALU_CYCLE_2) | instskip(SKIP_1) | instid1(TRANS32_DEP_1)
	v_rcp_iflag_f32_e32 v1, s2
	v_nop
	v_readfirstlane_b32 s2, v1
	s_mul_f32 s2, s2, 0x4f7ffffe
	s_delay_alu instid0(SALU_CYCLE_3) | instskip(NEXT) | instid1(SALU_CYCLE_3)
	s_cvt_u32_f32 s2, s2
	s_mul_i32 s6, s6, s2
	s_delay_alu instid0(SALU_CYCLE_1) | instskip(NEXT) | instid1(SALU_CYCLE_1)
	s_mul_hi_u32 s6, s2, s6
	s_add_co_i32 s2, s2, s6
	s_cmp_eq_u32 s5, 0
	s_load_b128 s[4:7], s[0:1], 0x38
	s_cselect_b32 s3, ttmp9, s3
	s_delay_alu instid0(SALU_CYCLE_1) | instskip(NEXT) | instid1(SALU_CYCLE_1)
	s_mul_hi_u32 s2, s3, s2
	s_mul_i32 s12, s2, s24
	s_add_co_i32 s13, s2, 1
	s_sub_co_i32 s12, s3, s12
	s_delay_alu instid0(SALU_CYCLE_1)
	s_sub_co_i32 s14, s12, s24
	s_cmp_ge_u32 s12, s24
	s_cselect_b32 s2, s13, s2
	s_cselect_b32 s12, s14, s12
	s_add_co_i32 s13, s2, 1
	s_cmp_ge_u32 s12, s24
	s_cselect_b32 s19, s13, s2
	s_delay_alu instid0(SALU_CYCLE_1) | instskip(SKIP_4) | instid1(SALU_CYCLE_1)
	s_mul_i32 s15, s19, s24
	s_lshl_b32 s19, s19, 4
	s_sub_co_i32 s2, s3, s15
	v_or_b32_e32 v1, s19, v2
	s_ashr_i32 s3, s2, 31
	s_lshl_b64 s[12:13], s[2:3], 2
	s_load_b64 s[2:3], s[0:1], 0x48
	s_wait_kmcnt 0x0
	s_add_nc_u64 s[6:7], s[6:7], s[12:13]
	v_cmp_gt_i32_e32 vcc_lo, s25, v1
	s_load_b32 s6, s[6:7], 0x0
	s_wait_kmcnt 0x0
	s_ashr_i32 s7, s6, 31
	s_delay_alu instid0(SALU_CYCLE_1) | instskip(NEXT) | instid1(SALU_CYCLE_1)
	s_lshl_b64 s[12:13], s[6:7], 2
	s_add_nc_u64 s[26:27], s[8:9], s[12:13]
	s_load_b96 s[12:14], s[0:1], 0x50
	s_load_b64 s[8:9], s[26:27], 0x0
	s_clause 0x1
	s_load_b96 s[16:18], s[0:1], 0x18
	s_load_b96 s[20:22], s[0:1], 0x28
	s_wait_xcnt 0x0
	v_cmp_eq_u32_e64 s0, 0, v0
	s_wait_kmcnt 0x0
	s_sub_co_i32 s23, s8, s12
	s_cmp_ge_i32 s8, s9
	s_mul_i32 s7, s6, s18
	s_mul_i32 s26, s18, s18
	s_cbranch_scc1 .LBB11_18
; %bb.1:
	v_mad_u32 v4, s18, s23, v3
	v_cmp_gt_i32_e64 s1, s18, v3
	s_sub_co_i32 s27, s9, s12
	v_mov_b32_e32 v5, 0
	s_cmp_lg_u32 s14, 0
	s_mul_i32 s30, s22, s18
	s_cselect_b32 s28, -1, 0
	s_and_b32 s29, vcc_lo, s1
	s_lshl_b32 s31, s18, 4
	v_mul_lo_u32 v4, s18, v4
	s_branch .LBB11_3
.LBB11_2:                               ;   in Loop: Header=BB11_3 Depth=1
                                        ; implicit-def: $vgpr4
	s_and_b32 vcc_lo, exec_lo, s8
	s_cbranch_vccnz .LBB11_19
.LBB11_3:                               ; =>This Loop Header: Depth=1
                                        ;     Child Loop BB11_7 Depth 2
                                        ;     Child Loop BB11_11 Depth 2
                                        ;       Child Loop BB11_13 Depth 3
	s_wait_xcnt 0x0
	v_mov_b32_e32 v6, s23
	s_mov_b32 s8, -1
	global_load_b32 v6, v6, s[10:11] scale_offset
	s_wait_loadcnt 0x0
	v_readfirstlane_b32 s1, v6
	s_sub_co_i32 s1, s1, s12
	s_delay_alu instid0(SALU_CYCLE_1)
	s_cmp_ge_i32 s1, s6
	s_cbranch_scc1 .LBB11_2
; %bb.4:                                ;   in Loop: Header=BB11_3 Depth=1
	s_wait_xcnt 0x0
	s_and_saveexec_b32 s33, s0
	s_cbranch_execz .LBB11_8
; %bb.5:                                ;   in Loop: Header=BB11_3 Depth=1
	s_add_co_i32 s8, s1, s15
	s_delay_alu instid0(SALU_CYCLE_1)
	v_mov_b32_e32 v6, s8
	global_load_b32 v6, v6, s[4:5] scale_offset scope:SCOPE_DEV
	s_wait_loadcnt 0x0
	v_cmp_ne_u32_e32 vcc_lo, 0, v6
	s_cbranch_vccnz .LBB11_8
; %bb.6:                                ;   in Loop: Header=BB11_3 Depth=1
	s_ashr_i32 s9, s8, 31
	s_delay_alu instid0(SALU_CYCLE_1) | instskip(NEXT) | instid1(SALU_CYCLE_1)
	s_lshl_b64 s[8:9], s[8:9], 2
	s_add_nc_u64 s[8:9], s[4:5], s[8:9]
.LBB11_7:                               ;   Parent Loop BB11_3 Depth=1
                                        ; =>  This Inner Loop Header: Depth=2
	global_load_b32 v6, v5, s[8:9] scope:SCOPE_DEV
	s_wait_loadcnt 0x0
	v_cmp_eq_u32_e32 vcc_lo, 0, v6
	s_cbranch_vccnz .LBB11_7
.LBB11_8:                               ;   in Loop: Header=BB11_3 Depth=1
	s_wait_xcnt 0x0
	s_or_b32 exec_lo, exec_lo, s33
	global_wb scope:SCOPE_DEV
	s_wait_storecnt 0x0
	global_inv scope:SCOPE_DEV
	s_wait_loadcnt 0x0
	s_barrier_signal -1
	s_barrier_wait -1
	s_and_saveexec_b32 s8, s29
	s_cbranch_execz .LBB11_17
; %bb.9:                                ;   in Loop: Header=BB11_3 Depth=1
	v_mad_u32 v6, s30, s1, v1
	v_dual_mov_b32 v7, v4 :: v_dual_mov_b32 v8, v3
	s_mul_i32 s9, s23, s18
	s_mov_b32 s33, 0
	s_branch .LBB11_11
.LBB11_10:                              ;   in Loop: Header=BB11_11 Depth=2
	v_dual_add_nc_u32 v10, s7, v8 :: v_dual_add_nc_u32 v8, 16, v8
	v_add_nc_u32_e32 v7, s31, v7
	s_delay_alu instid0(VALU_DEP_2) | instskip(NEXT) | instid1(VALU_DEP_3)
	v_mad_u32 v10, v10, s22, v1
	v_cmp_le_i32_e32 vcc_lo, s18, v8
	s_or_b32 s33, vcc_lo, s33
	global_load_b32 v11, v10, s[20:21] scale_offset
	s_wait_loadcnt 0x0
	v_sub_f32_e32 v9, v11, v9
	global_store_b32 v10, v9, s[20:21] scale_offset
	s_wait_xcnt 0x0
	s_and_not1_b32 exec_lo, exec_lo, s33
	s_cbranch_execz .LBB11_17
.LBB11_11:                              ;   Parent Loop BB11_3 Depth=1
                                        ; =>  This Loop Header: Depth=2
                                        ;       Child Loop BB11_13 Depth 3
	s_delay_alu instid0(VALU_DEP_2)
	v_dual_mov_b32 v9, 0 :: v_dual_mov_b32 v10, v6
	s_mov_b32 s34, 0
	s_branch .LBB11_13
.LBB11_12:                              ;   in Loop: Header=BB11_13 Depth=3
	global_load_b32 v12, v11, s[16:17] scale_offset
	global_load_b32 v13, v10, s[20:21] scale_offset
	s_add_co_i32 s34, s34, 1
	s_wait_xcnt 0x0
	v_add_nc_u32_e32 v10, s22, v10
	s_cmp_eq_u32 s18, s34
	s_wait_loadcnt 0x0
	v_fmac_f32_e32 v9, v12, v13
	s_cbranch_scc1 .LBB11_10
.LBB11_13:                              ;   Parent Loop BB11_3 Depth=1
                                        ;     Parent Loop BB11_11 Depth=2
                                        ; =>    This Inner Loop Header: Depth=3
	s_and_b32 vcc_lo, exec_lo, s28
	s_cbranch_vccz .LBB11_15
; %bb.14:                               ;   in Loop: Header=BB11_13 Depth=3
	s_add_co_i32 s35, s34, s9
	s_delay_alu instid0(SALU_CYCLE_1)
	v_mad_u32 v11, s35, s18, v8
	s_cbranch_execnz .LBB11_12
	s_branch .LBB11_16
.LBB11_15:                              ;   in Loop: Header=BB11_13 Depth=3
                                        ; implicit-def: $vgpr11
.LBB11_16:                              ;   in Loop: Header=BB11_13 Depth=3
	v_add_nc_u32_e32 v11, s34, v7
	s_branch .LBB11_12
.LBB11_17:                              ;   in Loop: Header=BB11_3 Depth=1
	s_or_b32 exec_lo, exec_lo, s8
	s_add_co_i32 s23, s23, 1
	v_add_nc_u32_e32 v4, s26, v4
	s_cmp_ge_i32 s23, s27
	s_cselect_b32 s8, -1, 0
	s_delay_alu instid0(SALU_CYCLE_1)
	s_and_b32 vcc_lo, exec_lo, s8
	s_cbranch_vccz .LBB11_3
	s_branch .LBB11_19
.LBB11_18:
	s_mov_b32 s1, s24
.LBB11_19:
	s_cmp_lt_i32 s6, s24
	v_cmp_gt_i32_e32 vcc_lo, s25, v1
	s_cselect_b32 s0, -1, 0
	s_cmp_eq_u32 s6, s1
	s_cselect_b32 s1, -1, 0
	s_delay_alu instid0(SALU_CYCLE_1) | instskip(SKIP_2) | instid1(SALU_CYCLE_1)
	s_and_b32 s1, vcc_lo, s1
	s_cmp_gt_i32 s18, 0
	s_cselect_b32 s8, -1, 0
	s_and_b32 s1, s1, s8
	s_mov_b32 s8, 0
	s_and_b32 s9, s1, s0
	s_wait_xcnt 0x0
	s_and_saveexec_b32 s1, s9
	s_cbranch_execz .LBB11_34
; %bb.20:
	v_add_nc_u32_e32 v4, s7, v3
	s_cmp_eq_u32 s13, 0
	s_mul_i32 s10, s23, s18
	s_cselect_b32 s9, -1, 0
	s_cmp_lg_u32 s14, 0
	v_mad_u32 v5, s22, v4, s22
	v_add_nc_u32_e32 v4, 1, v3
	s_cselect_b32 s11, -1, 0
	s_lshl_b32 s13, s22, 4
	s_mul_i32 s14, s23, s26
	s_mov_b32 s23, 0
	s_delay_alu instid0(VALU_DEP_2)
	v_add3_u32 v5, v2, v5, s19
	s_add_co_i32 s19, s18, 1
	s_branch .LBB11_22
.LBB11_21:                              ;   in Loop: Header=BB11_22 Depth=1
	s_or_b32 exec_lo, exec_lo, s24
	v_add_nc_u32_e32 v5, s22, v5
	s_add_co_i32 s8, s8, 1
	s_add_co_i32 s14, s14, s19
	s_cmp_eq_u32 s8, s18
	s_cbranch_scc1 .LBB11_33
.LBB11_22:                              ; =>This Loop Header: Depth=1
                                        ;     Child Loop BB11_29 Depth 2
	v_mov_b32_e32 v7, 1.0
	s_and_not1_b32 vcc_lo, exec_lo, s9
	s_cbranch_vccnz .LBB11_24
; %bb.23:                               ;   in Loop: Header=BB11_22 Depth=1
	s_add_co_i32 s24, s8, s10
	s_delay_alu instid0(SALU_CYCLE_1) | instskip(NEXT) | instid1(SALU_CYCLE_1)
	s_mul_i32 s24, s24, s18
	s_add_co_i32 s24, s24, s8
	s_delay_alu instid0(SALU_CYCLE_1)
	v_mov_b32_e32 v2, s24
	global_load_b32 v7, v2, s[16:17] scale_offset
.LBB11_24:                              ;   in Loop: Header=BB11_22 Depth=1
	s_add_co_i32 s24, s8, s7
	s_wait_loadcnt 0x0
	v_cmp_eq_f32_e32 vcc_lo, 0, v7
	s_wait_xcnt 0x0
	v_mad_u32 v2, s24, s22, v1
	global_load_b32 v6, v2, s[20:21] scale_offset
	s_cbranch_vccnz .LBB11_26
; %bb.25:                               ;   in Loop: Header=BB11_22 Depth=1
	s_wait_loadcnt 0x0
	v_div_scale_f32 v3, null, v7, v7, v6
	s_delay_alu instid0(VALU_DEP_1) | instskip(SKIP_1) | instid1(TRANS32_DEP_1)
	v_rcp_f32_e32 v8, v3
	v_nop
	v_fma_f32 v9, -v3, v8, 1.0
	s_delay_alu instid0(VALU_DEP_1) | instskip(SKIP_1) | instid1(VALU_DEP_1)
	v_fmac_f32_e32 v8, v9, v8
	v_div_scale_f32 v9, vcc_lo, v6, v7, v6
	v_mul_f32_e32 v10, v9, v8
	s_delay_alu instid0(VALU_DEP_1) | instskip(NEXT) | instid1(VALU_DEP_1)
	v_fma_f32 v11, -v3, v10, v9
	v_fmac_f32_e32 v10, v11, v8
	s_delay_alu instid0(VALU_DEP_1) | instskip(SKIP_1) | instid1(VALU_DEP_2)
	v_fma_f32 v9, -v3, v10, v9
	v_ashrrev_i32_e32 v3, 31, v2
	v_div_fmas_f32 v8, v9, v8, v10
	s_wait_xcnt 0x0
	s_delay_alu instid0(VALU_DEP_2) | instskip(NEXT) | instid1(VALU_DEP_2)
	v_lshl_add_u64 v[2:3], v[2:3], 2, s[20:21]
	v_div_fixup_f32 v6, v8, v7, v6
	global_store_b32 v[2:3], v6, off
	s_wait_xcnt 0x0
	v_add_nc_u32_e32 v2, s8, v4
	s_mov_b32 s24, exec_lo
	s_delay_alu instid0(VALU_DEP_1)
	v_cmpx_gt_i32_e64 s18, v2
	s_cbranch_execz .LBB11_21
	s_branch .LBB11_27
.LBB11_26:                              ;   in Loop: Header=BB11_22 Depth=1
	s_mov_b32 s23, -1
	s_wait_xcnt 0x0
	v_add_nc_u32_e32 v2, s8, v4
	s_mov_b32 s24, exec_lo
	s_delay_alu instid0(VALU_DEP_1)
	v_cmpx_gt_i32_e64 s18, v2
	s_cbranch_execz .LBB11_21
.LBB11_27:                              ;   in Loop: Header=BB11_22 Depth=1
	v_dual_mov_b32 v3, v5 :: v_dual_mov_b32 v7, v4
	s_mov_b32 s25, 0
	s_branch .LBB11_29
.LBB11_28:                              ;   in Loop: Header=BB11_29 Depth=2
	global_load_b32 v9, v8, s[16:17] scale_offset
	global_load_b32 v10, v3, s[20:21] scale_offset
	v_dual_add_nc_u32 v7, 16, v7 :: v_dual_add_nc_u32 v2, 16, v2
	s_wait_loadcnt 0x0
	s_wait_xcnt 0x1
	s_delay_alu instid0(VALU_DEP_1)
	v_dual_fma_f32 v9, -v6, v9, v10 :: v_dual_add_nc_u32 v8, s8, v7
	global_store_b32 v3, v9, s[20:21] scale_offset
	v_cmp_le_i32_e32 vcc_lo, s18, v8
	s_wait_xcnt 0x0
	v_add_nc_u32_e32 v3, s13, v3
	s_or_b32 s25, vcc_lo, s25
	s_delay_alu instid0(SALU_CYCLE_1)
	s_and_not1_b32 exec_lo, exec_lo, s25
	s_cbranch_execz .LBB11_21
.LBB11_29:                              ;   Parent Loop BB11_22 Depth=1
                                        ; =>  This Inner Loop Header: Depth=2
	s_and_b32 vcc_lo, exec_lo, s11
	s_cbranch_vccz .LBB11_31
; %bb.30:                               ;   in Loop: Header=BB11_29 Depth=2
	v_add_nc_u32_e32 v8, s14, v7
	s_cbranch_execnz .LBB11_28
	s_branch .LBB11_32
.LBB11_31:                              ;   in Loop: Header=BB11_29 Depth=2
                                        ; implicit-def: $vgpr8
.LBB11_32:                              ;   in Loop: Header=BB11_29 Depth=2
	v_add_nc_u32_e32 v8, s10, v2
	s_delay_alu instid0(VALU_DEP_1)
	v_mad_u32 v8, v8, s18, s8
	s_branch .LBB11_28
.LBB11_33:
	s_and_b32 s8, s23, exec_lo
.LBB11_34:
	s_or_b32 exec_lo, exec_lo, s1
	v_cmp_eq_u32_e32 vcc_lo, 0, v0
	global_wb scope:SCOPE_DEV
	s_wait_loadcnt 0x0
	s_wait_storecnt 0x0
	global_inv scope:SCOPE_DEV
	s_wait_loadcnt 0x0
	s_barrier_signal -1
	s_barrier_wait -1
	s_and_b32 s0, vcc_lo, s0
	s_delay_alu instid0(SALU_CYCLE_1)
	s_and_saveexec_b32 s1, s0
	s_cbranch_execz .LBB11_38
; %bb.35:
	s_add_co_i32 s0, s6, s15
	s_delay_alu instid0(SALU_CYCLE_1)
	v_dual_mov_b32 v0, 1 :: v_dual_mov_b32 v1, s0
	global_store_b32 v1, v0, s[4:5] scale_offset scope:SCOPE_DEV
	s_wait_xcnt 0x0
	s_and_b32 exec_lo, exec_lo, s8
	s_cbranch_execz .LBB11_38
; %bb.36:
	v_mbcnt_lo_u32_b32 v0, exec_lo, 0
	s_delay_alu instid0(VALU_DEP_1)
	v_cmp_eq_u32_e32 vcc_lo, 0, v0
	s_and_b32 exec_lo, exec_lo, vcc_lo
	s_cbranch_execz .LBB11_38
; %bb.37:
	s_add_co_i32 s0, s6, s12
	s_delay_alu instid0(SALU_CYCLE_1)
	v_dual_mov_b32 v0, 0 :: v_dual_mov_b32 v1, s0
	global_atomic_min_i32 v0, v1, s[2:3] scope:SCOPE_DEV
.LBB11_38:
	s_endpgm
	.section	.rodata,"a",@progbits
	.p2align	6, 0x0
	.amdhsa_kernel _ZN9rocsparseL24bsrsm_lower_large_kernelILj256ELj16ELb0EfEEviiPKiS2_PKT2_iPS3_iPiS2_S7_21rocsparse_index_base_20rocsparse_diag_type_20rocsparse_direction_
		.amdhsa_group_segment_fixed_size 0
		.amdhsa_private_segment_fixed_size 0
		.amdhsa_kernarg_size 92
		.amdhsa_user_sgpr_count 2
		.amdhsa_user_sgpr_dispatch_ptr 0
		.amdhsa_user_sgpr_queue_ptr 0
		.amdhsa_user_sgpr_kernarg_segment_ptr 1
		.amdhsa_user_sgpr_dispatch_id 0
		.amdhsa_user_sgpr_kernarg_preload_length 0
		.amdhsa_user_sgpr_kernarg_preload_offset 0
		.amdhsa_user_sgpr_private_segment_size 0
		.amdhsa_wavefront_size32 1
		.amdhsa_uses_dynamic_stack 0
		.amdhsa_enable_private_segment 0
		.amdhsa_system_sgpr_workgroup_id_x 1
		.amdhsa_system_sgpr_workgroup_id_y 0
		.amdhsa_system_sgpr_workgroup_id_z 0
		.amdhsa_system_sgpr_workgroup_info 0
		.amdhsa_system_vgpr_workitem_id 0
		.amdhsa_next_free_vgpr 14
		.amdhsa_next_free_sgpr 36
		.amdhsa_named_barrier_count 0
		.amdhsa_reserve_vcc 1
		.amdhsa_float_round_mode_32 0
		.amdhsa_float_round_mode_16_64 0
		.amdhsa_float_denorm_mode_32 3
		.amdhsa_float_denorm_mode_16_64 3
		.amdhsa_fp16_overflow 0
		.amdhsa_memory_ordered 1
		.amdhsa_forward_progress 1
		.amdhsa_inst_pref_size 13
		.amdhsa_round_robin_scheduling 0
		.amdhsa_exception_fp_ieee_invalid_op 0
		.amdhsa_exception_fp_denorm_src 0
		.amdhsa_exception_fp_ieee_div_zero 0
		.amdhsa_exception_fp_ieee_overflow 0
		.amdhsa_exception_fp_ieee_underflow 0
		.amdhsa_exception_fp_ieee_inexact 0
		.amdhsa_exception_int_div_zero 0
	.end_amdhsa_kernel
	.section	.text._ZN9rocsparseL24bsrsm_lower_large_kernelILj256ELj16ELb0EfEEviiPKiS2_PKT2_iPS3_iPiS2_S7_21rocsparse_index_base_20rocsparse_diag_type_20rocsparse_direction_,"axG",@progbits,_ZN9rocsparseL24bsrsm_lower_large_kernelILj256ELj16ELb0EfEEviiPKiS2_PKT2_iPS3_iPiS2_S7_21rocsparse_index_base_20rocsparse_diag_type_20rocsparse_direction_,comdat
.Lfunc_end11:
	.size	_ZN9rocsparseL24bsrsm_lower_large_kernelILj256ELj16ELb0EfEEviiPKiS2_PKT2_iPS3_iPiS2_S7_21rocsparse_index_base_20rocsparse_diag_type_20rocsparse_direction_, .Lfunc_end11-_ZN9rocsparseL24bsrsm_lower_large_kernelILj256ELj16ELb0EfEEviiPKiS2_PKT2_iPS3_iPiS2_S7_21rocsparse_index_base_20rocsparse_diag_type_20rocsparse_direction_
                                        ; -- End function
	.set _ZN9rocsparseL24bsrsm_lower_large_kernelILj256ELj16ELb0EfEEviiPKiS2_PKT2_iPS3_iPiS2_S7_21rocsparse_index_base_20rocsparse_diag_type_20rocsparse_direction_.num_vgpr, 14
	.set _ZN9rocsparseL24bsrsm_lower_large_kernelILj256ELj16ELb0EfEEviiPKiS2_PKT2_iPS3_iPiS2_S7_21rocsparse_index_base_20rocsparse_diag_type_20rocsparse_direction_.num_agpr, 0
	.set _ZN9rocsparseL24bsrsm_lower_large_kernelILj256ELj16ELb0EfEEviiPKiS2_PKT2_iPS3_iPiS2_S7_21rocsparse_index_base_20rocsparse_diag_type_20rocsparse_direction_.numbered_sgpr, 36
	.set _ZN9rocsparseL24bsrsm_lower_large_kernelILj256ELj16ELb0EfEEviiPKiS2_PKT2_iPS3_iPiS2_S7_21rocsparse_index_base_20rocsparse_diag_type_20rocsparse_direction_.num_named_barrier, 0
	.set _ZN9rocsparseL24bsrsm_lower_large_kernelILj256ELj16ELb0EfEEviiPKiS2_PKT2_iPS3_iPiS2_S7_21rocsparse_index_base_20rocsparse_diag_type_20rocsparse_direction_.private_seg_size, 0
	.set _ZN9rocsparseL24bsrsm_lower_large_kernelILj256ELj16ELb0EfEEviiPKiS2_PKT2_iPS3_iPiS2_S7_21rocsparse_index_base_20rocsparse_diag_type_20rocsparse_direction_.uses_vcc, 1
	.set _ZN9rocsparseL24bsrsm_lower_large_kernelILj256ELj16ELb0EfEEviiPKiS2_PKT2_iPS3_iPiS2_S7_21rocsparse_index_base_20rocsparse_diag_type_20rocsparse_direction_.uses_flat_scratch, 0
	.set _ZN9rocsparseL24bsrsm_lower_large_kernelILj256ELj16ELb0EfEEviiPKiS2_PKT2_iPS3_iPiS2_S7_21rocsparse_index_base_20rocsparse_diag_type_20rocsparse_direction_.has_dyn_sized_stack, 0
	.set _ZN9rocsparseL24bsrsm_lower_large_kernelILj256ELj16ELb0EfEEviiPKiS2_PKT2_iPS3_iPiS2_S7_21rocsparse_index_base_20rocsparse_diag_type_20rocsparse_direction_.has_recursion, 0
	.set _ZN9rocsparseL24bsrsm_lower_large_kernelILj256ELj16ELb0EfEEviiPKiS2_PKT2_iPS3_iPiS2_S7_21rocsparse_index_base_20rocsparse_diag_type_20rocsparse_direction_.has_indirect_call, 0
	.section	.AMDGPU.csdata,"",@progbits
; Kernel info:
; codeLenInByte = 1612
; TotalNumSgprs: 38
; NumVgprs: 14
; ScratchSize: 0
; MemoryBound: 0
; FloatMode: 240
; IeeeMode: 1
; LDSByteSize: 0 bytes/workgroup (compile time only)
; SGPRBlocks: 0
; VGPRBlocks: 0
; NumSGPRsForWavesPerEU: 38
; NumVGPRsForWavesPerEU: 14
; NamedBarCnt: 0
; Occupancy: 16
; WaveLimiterHint : 1
; COMPUTE_PGM_RSRC2:SCRATCH_EN: 0
; COMPUTE_PGM_RSRC2:USER_SGPR: 2
; COMPUTE_PGM_RSRC2:TRAP_HANDLER: 0
; COMPUTE_PGM_RSRC2:TGID_X_EN: 1
; COMPUTE_PGM_RSRC2:TGID_Y_EN: 0
; COMPUTE_PGM_RSRC2:TGID_Z_EN: 0
; COMPUTE_PGM_RSRC2:TIDIG_COMP_CNT: 0
	.section	.text._ZN9rocsparseL24bsrsm_upper_large_kernelILj512ELj16ELb0EfEEviiPKiS2_PKT2_iPS3_iPiS2_S7_21rocsparse_index_base_20rocsparse_diag_type_20rocsparse_direction_,"axG",@progbits,_ZN9rocsparseL24bsrsm_upper_large_kernelILj512ELj16ELb0EfEEviiPKiS2_PKT2_iPS3_iPiS2_S7_21rocsparse_index_base_20rocsparse_diag_type_20rocsparse_direction_,comdat
	.globl	_ZN9rocsparseL24bsrsm_upper_large_kernelILj512ELj16ELb0EfEEviiPKiS2_PKT2_iPS3_iPiS2_S7_21rocsparse_index_base_20rocsparse_diag_type_20rocsparse_direction_ ; -- Begin function _ZN9rocsparseL24bsrsm_upper_large_kernelILj512ELj16ELb0EfEEviiPKiS2_PKT2_iPS3_iPiS2_S7_21rocsparse_index_base_20rocsparse_diag_type_20rocsparse_direction_
	.p2align	8
	.type	_ZN9rocsparseL24bsrsm_upper_large_kernelILj512ELj16ELb0EfEEviiPKiS2_PKT2_iPS3_iPiS2_S7_21rocsparse_index_base_20rocsparse_diag_type_20rocsparse_direction_,@function
_ZN9rocsparseL24bsrsm_upper_large_kernelILj512ELj16ELb0EfEEviiPKiS2_PKT2_iPS3_iPiS2_S7_21rocsparse_index_base_20rocsparse_diag_type_20rocsparse_direction_: ; @_ZN9rocsparseL24bsrsm_upper_large_kernelILj512ELj16ELb0EfEEviiPKiS2_PKT2_iPS3_iPiS2_S7_21rocsparse_index_base_20rocsparse_diag_type_20rocsparse_direction_
; %bb.0:
	s_clause 0x1
	s_load_b64 s[24:25], s[0:1], 0x0
	s_load_b128 s[8:11], s[0:1], 0x8
	s_bfe_u32 s4, ttmp6, 0x4000c
	s_and_b32 s3, ttmp6, 15
	s_add_co_i32 s4, s4, 1
	s_getreg_b32 s5, hwreg(HW_REG_IB_STS2, 6, 4)
	s_mul_i32 s4, ttmp9, s4
	v_dual_lshrrev_b32 v2, 5, v0 :: v_dual_bitop2_b32 v4, 31, v0 bitop3:0x40
	s_add_co_i32 s3, s3, s4
	s_wait_kmcnt 0x0
	s_cvt_f32_u32 s2, s24
	s_sub_co_i32 s6, 0, s24
	s_delay_alu instid0(SALU_CYCLE_2) | instskip(SKIP_1) | instid1(TRANS32_DEP_1)
	v_rcp_iflag_f32_e32 v1, s2
	v_nop
	v_readfirstlane_b32 s2, v1
	s_mul_f32 s2, s2, 0x4f7ffffe
	s_delay_alu instid0(SALU_CYCLE_3) | instskip(NEXT) | instid1(SALU_CYCLE_3)
	s_cvt_u32_f32 s2, s2
	s_mul_i32 s6, s6, s2
	s_delay_alu instid0(SALU_CYCLE_1) | instskip(NEXT) | instid1(SALU_CYCLE_1)
	s_mul_hi_u32 s6, s2, s6
	s_add_co_i32 s2, s2, s6
	s_cmp_eq_u32 s5, 0
	s_load_b128 s[4:7], s[0:1], 0x38
	s_cselect_b32 s3, ttmp9, s3
	s_delay_alu instid0(SALU_CYCLE_1) | instskip(NEXT) | instid1(SALU_CYCLE_1)
	s_mul_hi_u32 s2, s3, s2
	s_mul_i32 s12, s2, s24
	s_add_co_i32 s13, s2, 1
	s_sub_co_i32 s12, s3, s12
	s_delay_alu instid0(SALU_CYCLE_1)
	s_sub_co_i32 s14, s12, s24
	s_cmp_ge_u32 s12, s24
	s_cselect_b32 s2, s13, s2
	s_cselect_b32 s12, s14, s12
	s_add_co_i32 s13, s2, 1
	s_cmp_ge_u32 s12, s24
	s_cselect_b32 s19, s13, s2
	s_delay_alu instid0(SALU_CYCLE_1) | instskip(SKIP_4) | instid1(SALU_CYCLE_1)
	s_mul_i32 s15, s19, s24
	s_lshl_b32 s19, s19, 4
	s_sub_co_i32 s2, s3, s15
	v_or_b32_e32 v1, s19, v2
	s_ashr_i32 s3, s2, 31
	s_lshl_b64 s[12:13], s[2:3], 2
	s_load_b64 s[2:3], s[0:1], 0x48
	s_wait_kmcnt 0x0
	s_add_nc_u64 s[6:7], s[6:7], s[12:13]
	s_load_b96 s[12:14], s[0:1], 0x50
	v_cmp_gt_i32_e32 vcc_lo, s25, v1
	s_load_b32 s6, s[6:7], 0x0
	s_wait_kmcnt 0x0
	s_ashr_i32 s7, s6, 31
	s_delay_alu instid0(SALU_CYCLE_1) | instskip(NEXT) | instid1(SALU_CYCLE_1)
	s_lshl_b64 s[16:17], s[6:7], 2
	s_add_nc_u64 s[8:9], s[8:9], s[16:17]
	s_load_b64 s[26:27], s[8:9], 0x0
	s_clause 0x1
	s_load_b96 s[16:18], s[0:1], 0x18
	s_load_b96 s[20:22], s[0:1], 0x28
	s_wait_xcnt 0x0
	s_not_b32 s0, s12
	s_wait_kmcnt 0x0
	s_add_co_i32 s23, s27, s0
	v_cmp_eq_u32_e64 s0, 0, v0
	s_sub_co_i32 s26, s26, s12
	s_mul_i32 s7, s6, s18
	s_cmp_lt_i32 s23, s26
	s_cbranch_scc1 .LBB12_18
; %bb.1:
	v_mad_u32 v3, s18, s23, v4
	v_cmp_gt_i32_e64 s1, s18, v4
	v_mov_b32_e32 v5, 0
	s_cmp_lg_u32 s14, 0
	s_mul_i32 s29, s22, s18
	s_cselect_b32 s27, -1, 0
	s_and_b32 s1, vcc_lo, s1
	s_mul_i32 s30, s18, s18
	s_lshl_b32 s31, s18, 5
	v_mul_lo_u32 v3, s18, v3
	s_branch .LBB12_3
.LBB12_2:                               ;   in Loop: Header=BB12_3 Depth=1
                                        ; implicit-def: $vgpr3
	s_cbranch_execnz .LBB12_19
.LBB12_3:                               ; =>This Loop Header: Depth=1
                                        ;     Child Loop BB12_7 Depth 2
                                        ;     Child Loop BB12_11 Depth 2
                                        ;       Child Loop BB12_13 Depth 3
	s_wait_xcnt 0x0
	v_mov_b32_e32 v6, s23
	global_load_b32 v6, v6, s[10:11] scale_offset
	s_wait_loadcnt 0x0
	v_readfirstlane_b32 s8, v6
	s_sub_co_i32 s28, s8, s12
	s_delay_alu instid0(SALU_CYCLE_1)
	s_cmp_le_i32 s28, s6
	s_cbranch_scc1 .LBB12_2
; %bb.4:                                ;   in Loop: Header=BB12_3 Depth=1
	s_wait_xcnt 0x0
	s_and_saveexec_b32 s33, s0
	s_cbranch_execz .LBB12_8
; %bb.5:                                ;   in Loop: Header=BB12_3 Depth=1
	s_add_co_i32 s8, s28, s15
	s_delay_alu instid0(SALU_CYCLE_1)
	v_mov_b32_e32 v6, s8
	global_load_b32 v6, v6, s[4:5] scale_offset scope:SCOPE_DEV
	s_wait_loadcnt 0x0
	v_cmp_ne_u32_e32 vcc_lo, 0, v6
	s_cbranch_vccnz .LBB12_8
; %bb.6:                                ;   in Loop: Header=BB12_3 Depth=1
	s_ashr_i32 s9, s8, 31
	s_delay_alu instid0(SALU_CYCLE_1) | instskip(NEXT) | instid1(SALU_CYCLE_1)
	s_lshl_b64 s[8:9], s[8:9], 2
	s_add_nc_u64 s[8:9], s[4:5], s[8:9]
.LBB12_7:                               ;   Parent Loop BB12_3 Depth=1
                                        ; =>  This Inner Loop Header: Depth=2
	global_load_b32 v6, v5, s[8:9] scope:SCOPE_DEV
	s_wait_loadcnt 0x0
	v_cmp_eq_u32_e32 vcc_lo, 0, v6
	s_cbranch_vccnz .LBB12_7
.LBB12_8:                               ;   in Loop: Header=BB12_3 Depth=1
	s_wait_xcnt 0x0
	s_or_b32 exec_lo, exec_lo, s33
	global_wb scope:SCOPE_DEV
	s_wait_storecnt 0x0
	global_inv scope:SCOPE_DEV
	s_wait_loadcnt 0x0
	s_barrier_signal -1
	s_barrier_wait -1
	s_and_saveexec_b32 s8, s1
	s_cbranch_execz .LBB12_17
; %bb.9:                                ;   in Loop: Header=BB12_3 Depth=1
	v_mad_u32 v6, s29, s28, v1
	v_dual_mov_b32 v7, v3 :: v_dual_mov_b32 v8, v4
	s_mul_i32 s9, s23, s18
	s_mov_b32 s33, 0
	s_branch .LBB12_11
.LBB12_10:                              ;   in Loop: Header=BB12_11 Depth=2
	v_dual_add_nc_u32 v10, s7, v8 :: v_dual_add_nc_u32 v8, 32, v8
	v_add_nc_u32_e32 v7, s31, v7
	s_delay_alu instid0(VALU_DEP_2) | instskip(NEXT) | instid1(VALU_DEP_3)
	v_mad_u32 v10, v10, s22, v1
	v_cmp_le_i32_e32 vcc_lo, s18, v8
	s_or_b32 s33, vcc_lo, s33
	global_load_b32 v11, v10, s[20:21] scale_offset
	s_wait_loadcnt 0x0
	v_sub_f32_e32 v9, v11, v9
	global_store_b32 v10, v9, s[20:21] scale_offset
	s_wait_xcnt 0x0
	s_and_not1_b32 exec_lo, exec_lo, s33
	s_cbranch_execz .LBB12_17
.LBB12_11:                              ;   Parent Loop BB12_3 Depth=1
                                        ; =>  This Loop Header: Depth=2
                                        ;       Child Loop BB12_13 Depth 3
	s_delay_alu instid0(VALU_DEP_2)
	v_dual_mov_b32 v9, 0 :: v_dual_mov_b32 v10, v6
	s_mov_b32 s34, 0
	s_branch .LBB12_13
.LBB12_12:                              ;   in Loop: Header=BB12_13 Depth=3
	global_load_b32 v12, v11, s[16:17] scale_offset
	global_load_b32 v13, v10, s[20:21] scale_offset
	s_add_co_i32 s34, s34, 1
	s_wait_xcnt 0x0
	v_add_nc_u32_e32 v10, s22, v10
	s_cmp_eq_u32 s18, s34
	s_wait_loadcnt 0x0
	v_fmac_f32_e32 v9, v12, v13
	s_cbranch_scc1 .LBB12_10
.LBB12_13:                              ;   Parent Loop BB12_3 Depth=1
                                        ;     Parent Loop BB12_11 Depth=2
                                        ; =>    This Inner Loop Header: Depth=3
	s_and_b32 vcc_lo, exec_lo, s27
	s_cbranch_vccz .LBB12_15
; %bb.14:                               ;   in Loop: Header=BB12_13 Depth=3
	s_add_co_i32 s35, s34, s9
	s_delay_alu instid0(SALU_CYCLE_1)
	v_mad_u32 v11, s35, s18, v8
	s_cbranch_execnz .LBB12_12
	s_branch .LBB12_16
.LBB12_15:                              ;   in Loop: Header=BB12_13 Depth=3
                                        ; implicit-def: $vgpr11
.LBB12_16:                              ;   in Loop: Header=BB12_13 Depth=3
	v_add_nc_u32_e32 v11, s34, v7
	s_branch .LBB12_12
.LBB12_17:                              ;   in Loop: Header=BB12_3 Depth=1
	s_or_b32 exec_lo, exec_lo, s8
	s_add_co_i32 s9, s23, -1
	s_cmp_le_i32 s23, s26
	v_subrev_nc_u32_e32 v3, s30, v3
	s_cselect_b32 s8, -1, 0
	s_mov_b32 s23, s9
	s_and_b32 vcc_lo, exec_lo, s8
	s_cbranch_vccz .LBB12_3
	s_branch .LBB12_19
.LBB12_18:
	s_mov_b32 s28, s24
.LBB12_19:
	s_cmp_lt_i32 s6, s24
	v_cmp_gt_i32_e32 vcc_lo, s25, v1
	s_cselect_b32 s0, -1, 0
	s_cmp_eq_u32 s6, s28
	s_cselect_b32 s1, -1, 0
	s_delay_alu instid0(SALU_CYCLE_1) | instskip(SKIP_2) | instid1(SALU_CYCLE_1)
	s_and_b32 s1, vcc_lo, s1
	s_cmp_gt_i32 s18, 0
	s_cselect_b32 s8, -1, 0
	s_and_b32 s1, s1, s8
	s_mov_b32 s8, 0
	s_and_b32 s9, s1, s0
	s_wait_xcnt 0x0
	s_and_saveexec_b32 s1, s9
	s_cbranch_execz .LBB12_35
; %bb.20:
	v_add_nc_u32_e32 v3, s7, v4
	s_cmp_eq_u32 s13, 0
	s_mov_b32 s10, 0
	s_cselect_b32 s8, -1, 0
	s_cmp_lg_u32 s14, 0
	v_mul_lo_u32 v3, s22, v3
	s_cselect_b32 s9, -1, 0
	s_add_co_i32 s11, s23, 1
	s_delay_alu instid0(SALU_CYCLE_1) | instskip(SKIP_4) | instid1(VALU_DEP_1)
	s_mul_i32 s13, s18, s11
	s_mul_i32 s11, s23, s18
	s_add_co_i32 s14, s13, -1
	s_lshl_b32 s13, s22, 5
	s_mul_i32 s14, s18, s14
	v_add3_u32 v5, v2, v3, s19
	s_mov_b32 s19, s18
	v_mov_b32_e32 v7, 1.0
	s_and_not1_b32 vcc_lo, exec_lo, s8
	s_add_co_i32 s23, s19, -1
	s_cbranch_vccnz .LBB12_22
.LBB12_21:
	s_add_co_i32 s24, s23, s11
	s_delay_alu instid0(SALU_CYCLE_1) | instskip(NEXT) | instid1(SALU_CYCLE_1)
	s_mul_i32 s24, s24, s18
	s_add_co_i32 s24, s24, s23
	s_delay_alu instid0(SALU_CYCLE_1)
	v_mov_b32_e32 v2, s24
	global_load_b32 v7, v2, s[16:17] scale_offset
.LBB12_22:                              ; =>This Loop Header: Depth=1
                                        ;     Child Loop BB12_27 Depth 2
	s_add_co_i32 s24, s23, s7
	s_wait_loadcnt 0x0
	v_cmp_eq_f32_e32 vcc_lo, 0, v7
	s_wait_xcnt 0x0
	v_mad_u32 v2, s24, s22, v1
	global_load_b32 v6, v2, s[20:21] scale_offset
	s_cbranch_vccnz .LBB12_24
; %bb.23:                               ;   in Loop: Header=BB12_22 Depth=1
	s_wait_loadcnt 0x0
	v_div_scale_f32 v3, null, v7, v7, v6
	s_delay_alu instid0(VALU_DEP_1) | instskip(SKIP_1) | instid1(TRANS32_DEP_1)
	v_rcp_f32_e32 v8, v3
	v_nop
	v_fma_f32 v9, -v3, v8, 1.0
	s_delay_alu instid0(VALU_DEP_1) | instskip(SKIP_1) | instid1(VALU_DEP_1)
	v_fmac_f32_e32 v8, v9, v8
	v_div_scale_f32 v9, vcc_lo, v6, v7, v6
	v_mul_f32_e32 v10, v9, v8
	s_delay_alu instid0(VALU_DEP_1) | instskip(NEXT) | instid1(VALU_DEP_1)
	v_fma_f32 v11, -v3, v10, v9
	v_fmac_f32_e32 v10, v11, v8
	s_delay_alu instid0(VALU_DEP_1) | instskip(SKIP_1) | instid1(VALU_DEP_2)
	v_fma_f32 v9, -v3, v10, v9
	v_ashrrev_i32_e32 v3, 31, v2
	v_div_fmas_f32 v8, v9, v8, v10
	s_wait_xcnt 0x0
	s_delay_alu instid0(VALU_DEP_2) | instskip(NEXT) | instid1(VALU_DEP_2)
	v_lshl_add_u64 v[2:3], v[2:3], 2, s[20:21]
	v_div_fixup_f32 v6, v8, v7, v6
	global_store_b32 v[2:3], v6, off
	s_mov_b32 s24, exec_lo
	s_wait_xcnt 0x0
	v_cmpx_gt_i32_e64 s23, v4
	s_cbranch_execnz .LBB12_25
	s_branch .LBB12_31
.LBB12_24:                              ;   in Loop: Header=BB12_22 Depth=1
	s_mov_b32 s10, -1
	s_mov_b32 s24, exec_lo
	s_wait_xcnt 0x0
	v_cmpx_gt_i32_e64 s23, v4
	s_cbranch_execz .LBB12_31
.LBB12_25:                              ;   in Loop: Header=BB12_22 Depth=1
	v_dual_mov_b32 v2, v5 :: v_dual_mov_b32 v3, v4
	s_mov_b32 s25, 0
	s_branch .LBB12_27
.LBB12_26:                              ;   in Loop: Header=BB12_27 Depth=2
	global_load_b32 v8, v7, s[16:17] scale_offset
	global_load_b32 v9, v2, s[20:21] scale_offset
	s_wait_loadcnt 0x0
	s_wait_xcnt 0x1
	v_dual_add_nc_u32 v3, 32, v3 :: v_dual_fma_f32 v7, -v6, v8, v9
	s_delay_alu instid0(VALU_DEP_1) | instskip(SKIP_4) | instid1(SALU_CYCLE_1)
	v_cmp_le_i32_e32 vcc_lo, s23, v3
	global_store_b32 v2, v7, s[20:21] scale_offset
	s_wait_xcnt 0x0
	v_add_nc_u32_e32 v2, s13, v2
	s_or_b32 s25, vcc_lo, s25
	s_and_not1_b32 exec_lo, exec_lo, s25
	s_cbranch_execz .LBB12_31
.LBB12_27:                              ;   Parent Loop BB12_22 Depth=1
                                        ; =>  This Inner Loop Header: Depth=2
	s_and_b32 vcc_lo, exec_lo, s9
	s_cbranch_vccz .LBB12_29
; %bb.28:                               ;   in Loop: Header=BB12_27 Depth=2
	v_add_nc_u32_e32 v7, s14, v3
	s_cbranch_execnz .LBB12_26
	s_branch .LBB12_30
.LBB12_29:                              ;   in Loop: Header=BB12_27 Depth=2
                                        ; implicit-def: $vgpr7
.LBB12_30:                              ;   in Loop: Header=BB12_27 Depth=2
	v_add_nc_u32_e32 v7, s11, v3
	s_delay_alu instid0(VALU_DEP_1)
	v_mad_u32 v7, v7, s18, s23
	s_branch .LBB12_26
.LBB12_31:                              ;   in Loop: Header=BB12_22 Depth=1
	s_or_b32 exec_lo, exec_lo, s24
; %bb.32:                               ;   in Loop: Header=BB12_22 Depth=1
	s_sub_co_i32 s14, s14, s18
	s_cmp_lt_i32 s19, 2
	s_cbranch_scc1 .LBB12_34
; %bb.33:                               ;   in Loop: Header=BB12_22 Depth=1
	s_mov_b32 s19, s23
	v_mov_b32_e32 v7, 1.0
	s_and_not1_b32 vcc_lo, exec_lo, s8
	s_add_co_i32 s23, s19, -1
	s_cbranch_vccnz .LBB12_22
	s_branch .LBB12_21
.LBB12_34:
	s_and_b32 s8, s10, exec_lo
.LBB12_35:
	s_or_b32 exec_lo, exec_lo, s1
	v_cmp_eq_u32_e32 vcc_lo, 0, v0
	global_wb scope:SCOPE_DEV
	s_wait_loadcnt 0x0
	s_wait_storecnt 0x0
	global_inv scope:SCOPE_DEV
	s_wait_loadcnt 0x0
	s_barrier_signal -1
	s_barrier_wait -1
	s_and_b32 s0, vcc_lo, s0
	s_delay_alu instid0(SALU_CYCLE_1)
	s_and_saveexec_b32 s1, s0
	s_cbranch_execz .LBB12_39
; %bb.36:
	s_add_co_i32 s0, s6, s15
	s_delay_alu instid0(SALU_CYCLE_1)
	v_dual_mov_b32 v0, 1 :: v_dual_mov_b32 v1, s0
	global_store_b32 v1, v0, s[4:5] scale_offset scope:SCOPE_DEV
	s_wait_xcnt 0x0
	s_and_b32 exec_lo, exec_lo, s8
	s_cbranch_execz .LBB12_39
; %bb.37:
	v_mbcnt_lo_u32_b32 v0, exec_lo, 0
	s_delay_alu instid0(VALU_DEP_1)
	v_cmp_eq_u32_e32 vcc_lo, 0, v0
	s_and_b32 exec_lo, exec_lo, vcc_lo
	s_cbranch_execz .LBB12_39
; %bb.38:
	s_add_co_i32 s0, s6, s12
	s_delay_alu instid0(SALU_CYCLE_1)
	v_dual_mov_b32 v0, 0 :: v_dual_mov_b32 v1, s0
	global_atomic_min_i32 v0, v1, s[2:3] scope:SCOPE_DEV
.LBB12_39:
	s_endpgm
	.section	.rodata,"a",@progbits
	.p2align	6, 0x0
	.amdhsa_kernel _ZN9rocsparseL24bsrsm_upper_large_kernelILj512ELj16ELb0EfEEviiPKiS2_PKT2_iPS3_iPiS2_S7_21rocsparse_index_base_20rocsparse_diag_type_20rocsparse_direction_
		.amdhsa_group_segment_fixed_size 0
		.amdhsa_private_segment_fixed_size 0
		.amdhsa_kernarg_size 92
		.amdhsa_user_sgpr_count 2
		.amdhsa_user_sgpr_dispatch_ptr 0
		.amdhsa_user_sgpr_queue_ptr 0
		.amdhsa_user_sgpr_kernarg_segment_ptr 1
		.amdhsa_user_sgpr_dispatch_id 0
		.amdhsa_user_sgpr_kernarg_preload_length 0
		.amdhsa_user_sgpr_kernarg_preload_offset 0
		.amdhsa_user_sgpr_private_segment_size 0
		.amdhsa_wavefront_size32 1
		.amdhsa_uses_dynamic_stack 0
		.amdhsa_enable_private_segment 0
		.amdhsa_system_sgpr_workgroup_id_x 1
		.amdhsa_system_sgpr_workgroup_id_y 0
		.amdhsa_system_sgpr_workgroup_id_z 0
		.amdhsa_system_sgpr_workgroup_info 0
		.amdhsa_system_vgpr_workitem_id 0
		.amdhsa_next_free_vgpr 14
		.amdhsa_next_free_sgpr 36
		.amdhsa_named_barrier_count 0
		.amdhsa_reserve_vcc 1
		.amdhsa_float_round_mode_32 0
		.amdhsa_float_round_mode_16_64 0
		.amdhsa_float_denorm_mode_32 3
		.amdhsa_float_denorm_mode_16_64 3
		.amdhsa_fp16_overflow 0
		.amdhsa_memory_ordered 1
		.amdhsa_forward_progress 1
		.amdhsa_inst_pref_size 13
		.amdhsa_round_robin_scheduling 0
		.amdhsa_exception_fp_ieee_invalid_op 0
		.amdhsa_exception_fp_denorm_src 0
		.amdhsa_exception_fp_ieee_div_zero 0
		.amdhsa_exception_fp_ieee_overflow 0
		.amdhsa_exception_fp_ieee_underflow 0
		.amdhsa_exception_fp_ieee_inexact 0
		.amdhsa_exception_int_div_zero 0
	.end_amdhsa_kernel
	.section	.text._ZN9rocsparseL24bsrsm_upper_large_kernelILj512ELj16ELb0EfEEviiPKiS2_PKT2_iPS3_iPiS2_S7_21rocsparse_index_base_20rocsparse_diag_type_20rocsparse_direction_,"axG",@progbits,_ZN9rocsparseL24bsrsm_upper_large_kernelILj512ELj16ELb0EfEEviiPKiS2_PKT2_iPS3_iPiS2_S7_21rocsparse_index_base_20rocsparse_diag_type_20rocsparse_direction_,comdat
.Lfunc_end12:
	.size	_ZN9rocsparseL24bsrsm_upper_large_kernelILj512ELj16ELb0EfEEviiPKiS2_PKT2_iPS3_iPiS2_S7_21rocsparse_index_base_20rocsparse_diag_type_20rocsparse_direction_, .Lfunc_end12-_ZN9rocsparseL24bsrsm_upper_large_kernelILj512ELj16ELb0EfEEviiPKiS2_PKT2_iPS3_iPiS2_S7_21rocsparse_index_base_20rocsparse_diag_type_20rocsparse_direction_
                                        ; -- End function
	.set _ZN9rocsparseL24bsrsm_upper_large_kernelILj512ELj16ELb0EfEEviiPKiS2_PKT2_iPS3_iPiS2_S7_21rocsparse_index_base_20rocsparse_diag_type_20rocsparse_direction_.num_vgpr, 14
	.set _ZN9rocsparseL24bsrsm_upper_large_kernelILj512ELj16ELb0EfEEviiPKiS2_PKT2_iPS3_iPiS2_S7_21rocsparse_index_base_20rocsparse_diag_type_20rocsparse_direction_.num_agpr, 0
	.set _ZN9rocsparseL24bsrsm_upper_large_kernelILj512ELj16ELb0EfEEviiPKiS2_PKT2_iPS3_iPiS2_S7_21rocsparse_index_base_20rocsparse_diag_type_20rocsparse_direction_.numbered_sgpr, 36
	.set _ZN9rocsparseL24bsrsm_upper_large_kernelILj512ELj16ELb0EfEEviiPKiS2_PKT2_iPS3_iPiS2_S7_21rocsparse_index_base_20rocsparse_diag_type_20rocsparse_direction_.num_named_barrier, 0
	.set _ZN9rocsparseL24bsrsm_upper_large_kernelILj512ELj16ELb0EfEEviiPKiS2_PKT2_iPS3_iPiS2_S7_21rocsparse_index_base_20rocsparse_diag_type_20rocsparse_direction_.private_seg_size, 0
	.set _ZN9rocsparseL24bsrsm_upper_large_kernelILj512ELj16ELb0EfEEviiPKiS2_PKT2_iPS3_iPiS2_S7_21rocsparse_index_base_20rocsparse_diag_type_20rocsparse_direction_.uses_vcc, 1
	.set _ZN9rocsparseL24bsrsm_upper_large_kernelILj512ELj16ELb0EfEEviiPKiS2_PKT2_iPS3_iPiS2_S7_21rocsparse_index_base_20rocsparse_diag_type_20rocsparse_direction_.uses_flat_scratch, 0
	.set _ZN9rocsparseL24bsrsm_upper_large_kernelILj512ELj16ELb0EfEEviiPKiS2_PKT2_iPS3_iPiS2_S7_21rocsparse_index_base_20rocsparse_diag_type_20rocsparse_direction_.has_dyn_sized_stack, 0
	.set _ZN9rocsparseL24bsrsm_upper_large_kernelILj512ELj16ELb0EfEEviiPKiS2_PKT2_iPS3_iPiS2_S7_21rocsparse_index_base_20rocsparse_diag_type_20rocsparse_direction_.has_recursion, 0
	.set _ZN9rocsparseL24bsrsm_upper_large_kernelILj512ELj16ELb0EfEEviiPKiS2_PKT2_iPS3_iPiS2_S7_21rocsparse_index_base_20rocsparse_diag_type_20rocsparse_direction_.has_indirect_call, 0
	.section	.AMDGPU.csdata,"",@progbits
; Kernel info:
; codeLenInByte = 1596
; TotalNumSgprs: 38
; NumVgprs: 14
; ScratchSize: 0
; MemoryBound: 0
; FloatMode: 240
; IeeeMode: 1
; LDSByteSize: 0 bytes/workgroup (compile time only)
; SGPRBlocks: 0
; VGPRBlocks: 0
; NumSGPRsForWavesPerEU: 38
; NumVGPRsForWavesPerEU: 14
; NamedBarCnt: 0
; Occupancy: 16
; WaveLimiterHint : 1
; COMPUTE_PGM_RSRC2:SCRATCH_EN: 0
; COMPUTE_PGM_RSRC2:USER_SGPR: 2
; COMPUTE_PGM_RSRC2:TRAP_HANDLER: 0
; COMPUTE_PGM_RSRC2:TGID_X_EN: 1
; COMPUTE_PGM_RSRC2:TGID_Y_EN: 0
; COMPUTE_PGM_RSRC2:TGID_Z_EN: 0
; COMPUTE_PGM_RSRC2:TIDIG_COMP_CNT: 0
	.section	.text._ZN9rocsparseL24bsrsm_lower_large_kernelILj512ELj16ELb0EfEEviiPKiS2_PKT2_iPS3_iPiS2_S7_21rocsparse_index_base_20rocsparse_diag_type_20rocsparse_direction_,"axG",@progbits,_ZN9rocsparseL24bsrsm_lower_large_kernelILj512ELj16ELb0EfEEviiPKiS2_PKT2_iPS3_iPiS2_S7_21rocsparse_index_base_20rocsparse_diag_type_20rocsparse_direction_,comdat
	.globl	_ZN9rocsparseL24bsrsm_lower_large_kernelILj512ELj16ELb0EfEEviiPKiS2_PKT2_iPS3_iPiS2_S7_21rocsparse_index_base_20rocsparse_diag_type_20rocsparse_direction_ ; -- Begin function _ZN9rocsparseL24bsrsm_lower_large_kernelILj512ELj16ELb0EfEEviiPKiS2_PKT2_iPS3_iPiS2_S7_21rocsparse_index_base_20rocsparse_diag_type_20rocsparse_direction_
	.p2align	8
	.type	_ZN9rocsparseL24bsrsm_lower_large_kernelILj512ELj16ELb0EfEEviiPKiS2_PKT2_iPS3_iPiS2_S7_21rocsparse_index_base_20rocsparse_diag_type_20rocsparse_direction_,@function
_ZN9rocsparseL24bsrsm_lower_large_kernelILj512ELj16ELb0EfEEviiPKiS2_PKT2_iPS3_iPiS2_S7_21rocsparse_index_base_20rocsparse_diag_type_20rocsparse_direction_: ; @_ZN9rocsparseL24bsrsm_lower_large_kernelILj512ELj16ELb0EfEEviiPKiS2_PKT2_iPS3_iPiS2_S7_21rocsparse_index_base_20rocsparse_diag_type_20rocsparse_direction_
; %bb.0:
	s_clause 0x1
	s_load_b64 s[24:25], s[0:1], 0x0
	s_load_b128 s[8:11], s[0:1], 0x8
	s_bfe_u32 s4, ttmp6, 0x4000c
	s_and_b32 s3, ttmp6, 15
	s_add_co_i32 s4, s4, 1
	s_getreg_b32 s5, hwreg(HW_REG_IB_STS2, 6, 4)
	s_mul_i32 s4, ttmp9, s4
	v_dual_lshrrev_b32 v2, 5, v0 :: v_dual_bitop2_b32 v3, 31, v0 bitop3:0x40
	s_add_co_i32 s3, s3, s4
	s_wait_kmcnt 0x0
	s_cvt_f32_u32 s2, s24
	s_sub_co_i32 s6, 0, s24
	s_delay_alu instid0(SALU_CYCLE_2) | instskip(SKIP_1) | instid1(TRANS32_DEP_1)
	v_rcp_iflag_f32_e32 v1, s2
	v_nop
	v_readfirstlane_b32 s2, v1
	s_mul_f32 s2, s2, 0x4f7ffffe
	s_delay_alu instid0(SALU_CYCLE_3) | instskip(NEXT) | instid1(SALU_CYCLE_3)
	s_cvt_u32_f32 s2, s2
	s_mul_i32 s6, s6, s2
	s_delay_alu instid0(SALU_CYCLE_1) | instskip(NEXT) | instid1(SALU_CYCLE_1)
	s_mul_hi_u32 s6, s2, s6
	s_add_co_i32 s2, s2, s6
	s_cmp_eq_u32 s5, 0
	s_load_b128 s[4:7], s[0:1], 0x38
	s_cselect_b32 s3, ttmp9, s3
	s_delay_alu instid0(SALU_CYCLE_1) | instskip(NEXT) | instid1(SALU_CYCLE_1)
	s_mul_hi_u32 s2, s3, s2
	s_mul_i32 s12, s2, s24
	s_add_co_i32 s13, s2, 1
	s_sub_co_i32 s12, s3, s12
	s_delay_alu instid0(SALU_CYCLE_1)
	s_sub_co_i32 s14, s12, s24
	s_cmp_ge_u32 s12, s24
	s_cselect_b32 s2, s13, s2
	s_cselect_b32 s12, s14, s12
	s_add_co_i32 s13, s2, 1
	s_cmp_ge_u32 s12, s24
	s_cselect_b32 s19, s13, s2
	s_delay_alu instid0(SALU_CYCLE_1) | instskip(SKIP_4) | instid1(SALU_CYCLE_1)
	s_mul_i32 s15, s19, s24
	s_lshl_b32 s19, s19, 4
	s_sub_co_i32 s2, s3, s15
	v_or_b32_e32 v1, s19, v2
	s_ashr_i32 s3, s2, 31
	s_lshl_b64 s[12:13], s[2:3], 2
	s_load_b64 s[2:3], s[0:1], 0x48
	s_wait_kmcnt 0x0
	s_add_nc_u64 s[6:7], s[6:7], s[12:13]
	v_cmp_gt_i32_e32 vcc_lo, s25, v1
	s_load_b32 s6, s[6:7], 0x0
	s_wait_kmcnt 0x0
	s_ashr_i32 s7, s6, 31
	s_delay_alu instid0(SALU_CYCLE_1) | instskip(NEXT) | instid1(SALU_CYCLE_1)
	s_lshl_b64 s[12:13], s[6:7], 2
	s_add_nc_u64 s[26:27], s[8:9], s[12:13]
	s_load_b96 s[12:14], s[0:1], 0x50
	s_load_b64 s[8:9], s[26:27], 0x0
	s_clause 0x1
	s_load_b96 s[16:18], s[0:1], 0x18
	s_load_b96 s[20:22], s[0:1], 0x28
	s_wait_xcnt 0x0
	v_cmp_eq_u32_e64 s0, 0, v0
	s_wait_kmcnt 0x0
	s_sub_co_i32 s23, s8, s12
	s_cmp_ge_i32 s8, s9
	s_mul_i32 s7, s6, s18
	s_mul_i32 s26, s18, s18
	s_cbranch_scc1 .LBB13_18
; %bb.1:
	v_mad_u32 v4, s18, s23, v3
	v_cmp_gt_i32_e64 s1, s18, v3
	s_sub_co_i32 s27, s9, s12
	v_mov_b32_e32 v5, 0
	s_cmp_lg_u32 s14, 0
	s_mul_i32 s30, s22, s18
	s_cselect_b32 s28, -1, 0
	s_and_b32 s29, vcc_lo, s1
	s_lshl_b32 s31, s18, 5
	v_mul_lo_u32 v4, s18, v4
	s_branch .LBB13_3
.LBB13_2:                               ;   in Loop: Header=BB13_3 Depth=1
                                        ; implicit-def: $vgpr4
	s_and_b32 vcc_lo, exec_lo, s8
	s_cbranch_vccnz .LBB13_19
.LBB13_3:                               ; =>This Loop Header: Depth=1
                                        ;     Child Loop BB13_7 Depth 2
                                        ;     Child Loop BB13_11 Depth 2
                                        ;       Child Loop BB13_13 Depth 3
	s_wait_xcnt 0x0
	v_mov_b32_e32 v6, s23
	s_mov_b32 s8, -1
	global_load_b32 v6, v6, s[10:11] scale_offset
	s_wait_loadcnt 0x0
	v_readfirstlane_b32 s1, v6
	s_sub_co_i32 s1, s1, s12
	s_delay_alu instid0(SALU_CYCLE_1)
	s_cmp_ge_i32 s1, s6
	s_cbranch_scc1 .LBB13_2
; %bb.4:                                ;   in Loop: Header=BB13_3 Depth=1
	s_wait_xcnt 0x0
	s_and_saveexec_b32 s33, s0
	s_cbranch_execz .LBB13_8
; %bb.5:                                ;   in Loop: Header=BB13_3 Depth=1
	s_add_co_i32 s8, s1, s15
	s_delay_alu instid0(SALU_CYCLE_1)
	v_mov_b32_e32 v6, s8
	global_load_b32 v6, v6, s[4:5] scale_offset scope:SCOPE_DEV
	s_wait_loadcnt 0x0
	v_cmp_ne_u32_e32 vcc_lo, 0, v6
	s_cbranch_vccnz .LBB13_8
; %bb.6:                                ;   in Loop: Header=BB13_3 Depth=1
	s_ashr_i32 s9, s8, 31
	s_delay_alu instid0(SALU_CYCLE_1) | instskip(NEXT) | instid1(SALU_CYCLE_1)
	s_lshl_b64 s[8:9], s[8:9], 2
	s_add_nc_u64 s[8:9], s[4:5], s[8:9]
.LBB13_7:                               ;   Parent Loop BB13_3 Depth=1
                                        ; =>  This Inner Loop Header: Depth=2
	global_load_b32 v6, v5, s[8:9] scope:SCOPE_DEV
	s_wait_loadcnt 0x0
	v_cmp_eq_u32_e32 vcc_lo, 0, v6
	s_cbranch_vccnz .LBB13_7
.LBB13_8:                               ;   in Loop: Header=BB13_3 Depth=1
	s_wait_xcnt 0x0
	s_or_b32 exec_lo, exec_lo, s33
	global_wb scope:SCOPE_DEV
	s_wait_storecnt 0x0
	global_inv scope:SCOPE_DEV
	s_wait_loadcnt 0x0
	s_barrier_signal -1
	s_barrier_wait -1
	s_and_saveexec_b32 s8, s29
	s_cbranch_execz .LBB13_17
; %bb.9:                                ;   in Loop: Header=BB13_3 Depth=1
	v_mad_u32 v6, s30, s1, v1
	v_dual_mov_b32 v7, v4 :: v_dual_mov_b32 v8, v3
	s_mul_i32 s9, s23, s18
	s_mov_b32 s33, 0
	s_branch .LBB13_11
.LBB13_10:                              ;   in Loop: Header=BB13_11 Depth=2
	v_dual_add_nc_u32 v10, s7, v8 :: v_dual_add_nc_u32 v8, 32, v8
	v_add_nc_u32_e32 v7, s31, v7
	s_delay_alu instid0(VALU_DEP_2) | instskip(NEXT) | instid1(VALU_DEP_3)
	v_mad_u32 v10, v10, s22, v1
	v_cmp_le_i32_e32 vcc_lo, s18, v8
	s_or_b32 s33, vcc_lo, s33
	global_load_b32 v11, v10, s[20:21] scale_offset
	s_wait_loadcnt 0x0
	v_sub_f32_e32 v9, v11, v9
	global_store_b32 v10, v9, s[20:21] scale_offset
	s_wait_xcnt 0x0
	s_and_not1_b32 exec_lo, exec_lo, s33
	s_cbranch_execz .LBB13_17
.LBB13_11:                              ;   Parent Loop BB13_3 Depth=1
                                        ; =>  This Loop Header: Depth=2
                                        ;       Child Loop BB13_13 Depth 3
	s_delay_alu instid0(VALU_DEP_2)
	v_dual_mov_b32 v9, 0 :: v_dual_mov_b32 v10, v6
	s_mov_b32 s34, 0
	s_branch .LBB13_13
.LBB13_12:                              ;   in Loop: Header=BB13_13 Depth=3
	global_load_b32 v12, v11, s[16:17] scale_offset
	global_load_b32 v13, v10, s[20:21] scale_offset
	s_add_co_i32 s34, s34, 1
	s_wait_xcnt 0x0
	v_add_nc_u32_e32 v10, s22, v10
	s_cmp_eq_u32 s18, s34
	s_wait_loadcnt 0x0
	v_fmac_f32_e32 v9, v12, v13
	s_cbranch_scc1 .LBB13_10
.LBB13_13:                              ;   Parent Loop BB13_3 Depth=1
                                        ;     Parent Loop BB13_11 Depth=2
                                        ; =>    This Inner Loop Header: Depth=3
	s_and_b32 vcc_lo, exec_lo, s28
	s_cbranch_vccz .LBB13_15
; %bb.14:                               ;   in Loop: Header=BB13_13 Depth=3
	s_add_co_i32 s35, s34, s9
	s_delay_alu instid0(SALU_CYCLE_1)
	v_mad_u32 v11, s35, s18, v8
	s_cbranch_execnz .LBB13_12
	s_branch .LBB13_16
.LBB13_15:                              ;   in Loop: Header=BB13_13 Depth=3
                                        ; implicit-def: $vgpr11
.LBB13_16:                              ;   in Loop: Header=BB13_13 Depth=3
	v_add_nc_u32_e32 v11, s34, v7
	s_branch .LBB13_12
.LBB13_17:                              ;   in Loop: Header=BB13_3 Depth=1
	s_or_b32 exec_lo, exec_lo, s8
	s_add_co_i32 s23, s23, 1
	v_add_nc_u32_e32 v4, s26, v4
	s_cmp_ge_i32 s23, s27
	s_cselect_b32 s8, -1, 0
	s_delay_alu instid0(SALU_CYCLE_1)
	s_and_b32 vcc_lo, exec_lo, s8
	s_cbranch_vccz .LBB13_3
	s_branch .LBB13_19
.LBB13_18:
	s_mov_b32 s1, s24
.LBB13_19:
	s_cmp_lt_i32 s6, s24
	v_cmp_gt_i32_e32 vcc_lo, s25, v1
	s_cselect_b32 s0, -1, 0
	s_cmp_eq_u32 s6, s1
	s_cselect_b32 s1, -1, 0
	s_delay_alu instid0(SALU_CYCLE_1) | instskip(SKIP_2) | instid1(SALU_CYCLE_1)
	s_and_b32 s1, vcc_lo, s1
	s_cmp_gt_i32 s18, 0
	s_cselect_b32 s8, -1, 0
	s_and_b32 s1, s1, s8
	s_mov_b32 s8, 0
	s_and_b32 s9, s1, s0
	s_wait_xcnt 0x0
	s_and_saveexec_b32 s1, s9
	s_cbranch_execz .LBB13_34
; %bb.20:
	v_add_nc_u32_e32 v4, s7, v3
	s_cmp_eq_u32 s13, 0
	s_mul_i32 s10, s23, s18
	s_cselect_b32 s9, -1, 0
	s_cmp_lg_u32 s14, 0
	v_mad_u32 v5, s22, v4, s22
	v_add_nc_u32_e32 v4, 1, v3
	s_cselect_b32 s11, -1, 0
	s_lshl_b32 s13, s22, 5
	s_mul_i32 s14, s23, s26
	s_mov_b32 s23, 0
	s_delay_alu instid0(VALU_DEP_2)
	v_add3_u32 v5, v2, v5, s19
	s_add_co_i32 s19, s18, 1
	s_branch .LBB13_22
.LBB13_21:                              ;   in Loop: Header=BB13_22 Depth=1
	s_or_b32 exec_lo, exec_lo, s24
	v_add_nc_u32_e32 v5, s22, v5
	s_add_co_i32 s8, s8, 1
	s_add_co_i32 s14, s14, s19
	s_cmp_eq_u32 s8, s18
	s_cbranch_scc1 .LBB13_33
.LBB13_22:                              ; =>This Loop Header: Depth=1
                                        ;     Child Loop BB13_29 Depth 2
	v_mov_b32_e32 v7, 1.0
	s_and_not1_b32 vcc_lo, exec_lo, s9
	s_cbranch_vccnz .LBB13_24
; %bb.23:                               ;   in Loop: Header=BB13_22 Depth=1
	s_add_co_i32 s24, s8, s10
	s_delay_alu instid0(SALU_CYCLE_1) | instskip(NEXT) | instid1(SALU_CYCLE_1)
	s_mul_i32 s24, s24, s18
	s_add_co_i32 s24, s24, s8
	s_delay_alu instid0(SALU_CYCLE_1)
	v_mov_b32_e32 v2, s24
	global_load_b32 v7, v2, s[16:17] scale_offset
.LBB13_24:                              ;   in Loop: Header=BB13_22 Depth=1
	s_add_co_i32 s24, s8, s7
	s_wait_loadcnt 0x0
	v_cmp_eq_f32_e32 vcc_lo, 0, v7
	s_wait_xcnt 0x0
	v_mad_u32 v2, s24, s22, v1
	global_load_b32 v6, v2, s[20:21] scale_offset
	s_cbranch_vccnz .LBB13_26
; %bb.25:                               ;   in Loop: Header=BB13_22 Depth=1
	s_wait_loadcnt 0x0
	v_div_scale_f32 v3, null, v7, v7, v6
	s_delay_alu instid0(VALU_DEP_1) | instskip(SKIP_1) | instid1(TRANS32_DEP_1)
	v_rcp_f32_e32 v8, v3
	v_nop
	v_fma_f32 v9, -v3, v8, 1.0
	s_delay_alu instid0(VALU_DEP_1) | instskip(SKIP_1) | instid1(VALU_DEP_1)
	v_fmac_f32_e32 v8, v9, v8
	v_div_scale_f32 v9, vcc_lo, v6, v7, v6
	v_mul_f32_e32 v10, v9, v8
	s_delay_alu instid0(VALU_DEP_1) | instskip(NEXT) | instid1(VALU_DEP_1)
	v_fma_f32 v11, -v3, v10, v9
	v_fmac_f32_e32 v10, v11, v8
	s_delay_alu instid0(VALU_DEP_1) | instskip(SKIP_1) | instid1(VALU_DEP_2)
	v_fma_f32 v9, -v3, v10, v9
	v_ashrrev_i32_e32 v3, 31, v2
	v_div_fmas_f32 v8, v9, v8, v10
	s_wait_xcnt 0x0
	s_delay_alu instid0(VALU_DEP_2) | instskip(NEXT) | instid1(VALU_DEP_2)
	v_lshl_add_u64 v[2:3], v[2:3], 2, s[20:21]
	v_div_fixup_f32 v6, v8, v7, v6
	global_store_b32 v[2:3], v6, off
	s_wait_xcnt 0x0
	v_add_nc_u32_e32 v2, s8, v4
	s_mov_b32 s24, exec_lo
	s_delay_alu instid0(VALU_DEP_1)
	v_cmpx_gt_i32_e64 s18, v2
	s_cbranch_execz .LBB13_21
	s_branch .LBB13_27
.LBB13_26:                              ;   in Loop: Header=BB13_22 Depth=1
	s_mov_b32 s23, -1
	s_wait_xcnt 0x0
	v_add_nc_u32_e32 v2, s8, v4
	s_mov_b32 s24, exec_lo
	s_delay_alu instid0(VALU_DEP_1)
	v_cmpx_gt_i32_e64 s18, v2
	s_cbranch_execz .LBB13_21
.LBB13_27:                              ;   in Loop: Header=BB13_22 Depth=1
	v_dual_mov_b32 v3, v5 :: v_dual_mov_b32 v7, v4
	s_mov_b32 s25, 0
	s_branch .LBB13_29
.LBB13_28:                              ;   in Loop: Header=BB13_29 Depth=2
	global_load_b32 v9, v8, s[16:17] scale_offset
	global_load_b32 v10, v3, s[20:21] scale_offset
	v_dual_add_nc_u32 v7, 32, v7 :: v_dual_add_nc_u32 v2, 32, v2
	s_wait_loadcnt 0x0
	s_wait_xcnt 0x1
	s_delay_alu instid0(VALU_DEP_1)
	v_dual_fma_f32 v9, -v6, v9, v10 :: v_dual_add_nc_u32 v8, s8, v7
	global_store_b32 v3, v9, s[20:21] scale_offset
	v_cmp_le_i32_e32 vcc_lo, s18, v8
	s_wait_xcnt 0x0
	v_add_nc_u32_e32 v3, s13, v3
	s_or_b32 s25, vcc_lo, s25
	s_delay_alu instid0(SALU_CYCLE_1)
	s_and_not1_b32 exec_lo, exec_lo, s25
	s_cbranch_execz .LBB13_21
.LBB13_29:                              ;   Parent Loop BB13_22 Depth=1
                                        ; =>  This Inner Loop Header: Depth=2
	s_and_b32 vcc_lo, exec_lo, s11
	s_cbranch_vccz .LBB13_31
; %bb.30:                               ;   in Loop: Header=BB13_29 Depth=2
	v_add_nc_u32_e32 v8, s14, v7
	s_cbranch_execnz .LBB13_28
	s_branch .LBB13_32
.LBB13_31:                              ;   in Loop: Header=BB13_29 Depth=2
                                        ; implicit-def: $vgpr8
.LBB13_32:                              ;   in Loop: Header=BB13_29 Depth=2
	v_add_nc_u32_e32 v8, s10, v2
	s_delay_alu instid0(VALU_DEP_1)
	v_mad_u32 v8, v8, s18, s8
	s_branch .LBB13_28
.LBB13_33:
	s_and_b32 s8, s23, exec_lo
.LBB13_34:
	s_or_b32 exec_lo, exec_lo, s1
	v_cmp_eq_u32_e32 vcc_lo, 0, v0
	global_wb scope:SCOPE_DEV
	s_wait_loadcnt 0x0
	s_wait_storecnt 0x0
	global_inv scope:SCOPE_DEV
	s_wait_loadcnt 0x0
	s_barrier_signal -1
	s_barrier_wait -1
	s_and_b32 s0, vcc_lo, s0
	s_delay_alu instid0(SALU_CYCLE_1)
	s_and_saveexec_b32 s1, s0
	s_cbranch_execz .LBB13_38
; %bb.35:
	s_add_co_i32 s0, s6, s15
	s_delay_alu instid0(SALU_CYCLE_1)
	v_dual_mov_b32 v0, 1 :: v_dual_mov_b32 v1, s0
	global_store_b32 v1, v0, s[4:5] scale_offset scope:SCOPE_DEV
	s_wait_xcnt 0x0
	s_and_b32 exec_lo, exec_lo, s8
	s_cbranch_execz .LBB13_38
; %bb.36:
	v_mbcnt_lo_u32_b32 v0, exec_lo, 0
	s_delay_alu instid0(VALU_DEP_1)
	v_cmp_eq_u32_e32 vcc_lo, 0, v0
	s_and_b32 exec_lo, exec_lo, vcc_lo
	s_cbranch_execz .LBB13_38
; %bb.37:
	s_add_co_i32 s0, s6, s12
	s_delay_alu instid0(SALU_CYCLE_1)
	v_dual_mov_b32 v0, 0 :: v_dual_mov_b32 v1, s0
	global_atomic_min_i32 v0, v1, s[2:3] scope:SCOPE_DEV
.LBB13_38:
	s_endpgm
	.section	.rodata,"a",@progbits
	.p2align	6, 0x0
	.amdhsa_kernel _ZN9rocsparseL24bsrsm_lower_large_kernelILj512ELj16ELb0EfEEviiPKiS2_PKT2_iPS3_iPiS2_S7_21rocsparse_index_base_20rocsparse_diag_type_20rocsparse_direction_
		.amdhsa_group_segment_fixed_size 0
		.amdhsa_private_segment_fixed_size 0
		.amdhsa_kernarg_size 92
		.amdhsa_user_sgpr_count 2
		.amdhsa_user_sgpr_dispatch_ptr 0
		.amdhsa_user_sgpr_queue_ptr 0
		.amdhsa_user_sgpr_kernarg_segment_ptr 1
		.amdhsa_user_sgpr_dispatch_id 0
		.amdhsa_user_sgpr_kernarg_preload_length 0
		.amdhsa_user_sgpr_kernarg_preload_offset 0
		.amdhsa_user_sgpr_private_segment_size 0
		.amdhsa_wavefront_size32 1
		.amdhsa_uses_dynamic_stack 0
		.amdhsa_enable_private_segment 0
		.amdhsa_system_sgpr_workgroup_id_x 1
		.amdhsa_system_sgpr_workgroup_id_y 0
		.amdhsa_system_sgpr_workgroup_id_z 0
		.amdhsa_system_sgpr_workgroup_info 0
		.amdhsa_system_vgpr_workitem_id 0
		.amdhsa_next_free_vgpr 14
		.amdhsa_next_free_sgpr 36
		.amdhsa_named_barrier_count 0
		.amdhsa_reserve_vcc 1
		.amdhsa_float_round_mode_32 0
		.amdhsa_float_round_mode_16_64 0
		.amdhsa_float_denorm_mode_32 3
		.amdhsa_float_denorm_mode_16_64 3
		.amdhsa_fp16_overflow 0
		.amdhsa_memory_ordered 1
		.amdhsa_forward_progress 1
		.amdhsa_inst_pref_size 13
		.amdhsa_round_robin_scheduling 0
		.amdhsa_exception_fp_ieee_invalid_op 0
		.amdhsa_exception_fp_denorm_src 0
		.amdhsa_exception_fp_ieee_div_zero 0
		.amdhsa_exception_fp_ieee_overflow 0
		.amdhsa_exception_fp_ieee_underflow 0
		.amdhsa_exception_fp_ieee_inexact 0
		.amdhsa_exception_int_div_zero 0
	.end_amdhsa_kernel
	.section	.text._ZN9rocsparseL24bsrsm_lower_large_kernelILj512ELj16ELb0EfEEviiPKiS2_PKT2_iPS3_iPiS2_S7_21rocsparse_index_base_20rocsparse_diag_type_20rocsparse_direction_,"axG",@progbits,_ZN9rocsparseL24bsrsm_lower_large_kernelILj512ELj16ELb0EfEEviiPKiS2_PKT2_iPS3_iPiS2_S7_21rocsparse_index_base_20rocsparse_diag_type_20rocsparse_direction_,comdat
.Lfunc_end13:
	.size	_ZN9rocsparseL24bsrsm_lower_large_kernelILj512ELj16ELb0EfEEviiPKiS2_PKT2_iPS3_iPiS2_S7_21rocsparse_index_base_20rocsparse_diag_type_20rocsparse_direction_, .Lfunc_end13-_ZN9rocsparseL24bsrsm_lower_large_kernelILj512ELj16ELb0EfEEviiPKiS2_PKT2_iPS3_iPiS2_S7_21rocsparse_index_base_20rocsparse_diag_type_20rocsparse_direction_
                                        ; -- End function
	.set _ZN9rocsparseL24bsrsm_lower_large_kernelILj512ELj16ELb0EfEEviiPKiS2_PKT2_iPS3_iPiS2_S7_21rocsparse_index_base_20rocsparse_diag_type_20rocsparse_direction_.num_vgpr, 14
	.set _ZN9rocsparseL24bsrsm_lower_large_kernelILj512ELj16ELb0EfEEviiPKiS2_PKT2_iPS3_iPiS2_S7_21rocsparse_index_base_20rocsparse_diag_type_20rocsparse_direction_.num_agpr, 0
	.set _ZN9rocsparseL24bsrsm_lower_large_kernelILj512ELj16ELb0EfEEviiPKiS2_PKT2_iPS3_iPiS2_S7_21rocsparse_index_base_20rocsparse_diag_type_20rocsparse_direction_.numbered_sgpr, 36
	.set _ZN9rocsparseL24bsrsm_lower_large_kernelILj512ELj16ELb0EfEEviiPKiS2_PKT2_iPS3_iPiS2_S7_21rocsparse_index_base_20rocsparse_diag_type_20rocsparse_direction_.num_named_barrier, 0
	.set _ZN9rocsparseL24bsrsm_lower_large_kernelILj512ELj16ELb0EfEEviiPKiS2_PKT2_iPS3_iPiS2_S7_21rocsparse_index_base_20rocsparse_diag_type_20rocsparse_direction_.private_seg_size, 0
	.set _ZN9rocsparseL24bsrsm_lower_large_kernelILj512ELj16ELb0EfEEviiPKiS2_PKT2_iPS3_iPiS2_S7_21rocsparse_index_base_20rocsparse_diag_type_20rocsparse_direction_.uses_vcc, 1
	.set _ZN9rocsparseL24bsrsm_lower_large_kernelILj512ELj16ELb0EfEEviiPKiS2_PKT2_iPS3_iPiS2_S7_21rocsparse_index_base_20rocsparse_diag_type_20rocsparse_direction_.uses_flat_scratch, 0
	.set _ZN9rocsparseL24bsrsm_lower_large_kernelILj512ELj16ELb0EfEEviiPKiS2_PKT2_iPS3_iPiS2_S7_21rocsparse_index_base_20rocsparse_diag_type_20rocsparse_direction_.has_dyn_sized_stack, 0
	.set _ZN9rocsparseL24bsrsm_lower_large_kernelILj512ELj16ELb0EfEEviiPKiS2_PKT2_iPS3_iPiS2_S7_21rocsparse_index_base_20rocsparse_diag_type_20rocsparse_direction_.has_recursion, 0
	.set _ZN9rocsparseL24bsrsm_lower_large_kernelILj512ELj16ELb0EfEEviiPKiS2_PKT2_iPS3_iPiS2_S7_21rocsparse_index_base_20rocsparse_diag_type_20rocsparse_direction_.has_indirect_call, 0
	.section	.AMDGPU.csdata,"",@progbits
; Kernel info:
; codeLenInByte = 1612
; TotalNumSgprs: 38
; NumVgprs: 14
; ScratchSize: 0
; MemoryBound: 0
; FloatMode: 240
; IeeeMode: 1
; LDSByteSize: 0 bytes/workgroup (compile time only)
; SGPRBlocks: 0
; VGPRBlocks: 0
; NumSGPRsForWavesPerEU: 38
; NumVGPRsForWavesPerEU: 14
; NamedBarCnt: 0
; Occupancy: 16
; WaveLimiterHint : 1
; COMPUTE_PGM_RSRC2:SCRATCH_EN: 0
; COMPUTE_PGM_RSRC2:USER_SGPR: 2
; COMPUTE_PGM_RSRC2:TRAP_HANDLER: 0
; COMPUTE_PGM_RSRC2:TGID_X_EN: 1
; COMPUTE_PGM_RSRC2:TGID_Y_EN: 0
; COMPUTE_PGM_RSRC2:TGID_Z_EN: 0
; COMPUTE_PGM_RSRC2:TIDIG_COMP_CNT: 0
	.section	.text._ZN9rocsparseL24bsrsm_upper_large_kernelILj1024ELj16ELb0EfEEviiPKiS2_PKT2_iPS3_iPiS2_S7_21rocsparse_index_base_20rocsparse_diag_type_20rocsparse_direction_,"axG",@progbits,_ZN9rocsparseL24bsrsm_upper_large_kernelILj1024ELj16ELb0EfEEviiPKiS2_PKT2_iPS3_iPiS2_S7_21rocsparse_index_base_20rocsparse_diag_type_20rocsparse_direction_,comdat
	.globl	_ZN9rocsparseL24bsrsm_upper_large_kernelILj1024ELj16ELb0EfEEviiPKiS2_PKT2_iPS3_iPiS2_S7_21rocsparse_index_base_20rocsparse_diag_type_20rocsparse_direction_ ; -- Begin function _ZN9rocsparseL24bsrsm_upper_large_kernelILj1024ELj16ELb0EfEEviiPKiS2_PKT2_iPS3_iPiS2_S7_21rocsparse_index_base_20rocsparse_diag_type_20rocsparse_direction_
	.p2align	8
	.type	_ZN9rocsparseL24bsrsm_upper_large_kernelILj1024ELj16ELb0EfEEviiPKiS2_PKT2_iPS3_iPiS2_S7_21rocsparse_index_base_20rocsparse_diag_type_20rocsparse_direction_,@function
_ZN9rocsparseL24bsrsm_upper_large_kernelILj1024ELj16ELb0EfEEviiPKiS2_PKT2_iPS3_iPiS2_S7_21rocsparse_index_base_20rocsparse_diag_type_20rocsparse_direction_: ; @_ZN9rocsparseL24bsrsm_upper_large_kernelILj1024ELj16ELb0EfEEviiPKiS2_PKT2_iPS3_iPiS2_S7_21rocsparse_index_base_20rocsparse_diag_type_20rocsparse_direction_
; %bb.0:
	s_clause 0x1
	s_load_b64 s[24:25], s[0:1], 0x0
	s_load_b128 s[8:11], s[0:1], 0x8
	s_bfe_u32 s4, ttmp6, 0x4000c
	s_and_b32 s3, ttmp6, 15
	s_add_co_i32 s4, s4, 1
	s_getreg_b32 s5, hwreg(HW_REG_IB_STS2, 6, 4)
	s_mul_i32 s4, ttmp9, s4
	v_dual_lshrrev_b32 v2, 6, v0 :: v_dual_bitop2_b32 v4, 63, v0 bitop3:0x40
	s_add_co_i32 s3, s3, s4
	s_wait_kmcnt 0x0
	s_cvt_f32_u32 s2, s24
	s_sub_co_i32 s6, 0, s24
	s_delay_alu instid0(SALU_CYCLE_2) | instskip(SKIP_1) | instid1(TRANS32_DEP_1)
	v_rcp_iflag_f32_e32 v1, s2
	v_nop
	v_readfirstlane_b32 s2, v1
	s_mul_f32 s2, s2, 0x4f7ffffe
	s_delay_alu instid0(SALU_CYCLE_3) | instskip(NEXT) | instid1(SALU_CYCLE_3)
	s_cvt_u32_f32 s2, s2
	s_mul_i32 s6, s6, s2
	s_delay_alu instid0(SALU_CYCLE_1) | instskip(NEXT) | instid1(SALU_CYCLE_1)
	s_mul_hi_u32 s6, s2, s6
	s_add_co_i32 s2, s2, s6
	s_cmp_eq_u32 s5, 0
	s_load_b128 s[4:7], s[0:1], 0x38
	s_cselect_b32 s3, ttmp9, s3
	s_delay_alu instid0(SALU_CYCLE_1) | instskip(NEXT) | instid1(SALU_CYCLE_1)
	s_mul_hi_u32 s2, s3, s2
	s_mul_i32 s12, s2, s24
	s_add_co_i32 s13, s2, 1
	s_sub_co_i32 s12, s3, s12
	s_delay_alu instid0(SALU_CYCLE_1)
	s_sub_co_i32 s14, s12, s24
	s_cmp_ge_u32 s12, s24
	s_cselect_b32 s2, s13, s2
	s_cselect_b32 s12, s14, s12
	s_add_co_i32 s13, s2, 1
	s_cmp_ge_u32 s12, s24
	s_cselect_b32 s19, s13, s2
	s_delay_alu instid0(SALU_CYCLE_1) | instskip(SKIP_4) | instid1(SALU_CYCLE_1)
	s_mul_i32 s15, s19, s24
	s_lshl_b32 s19, s19, 4
	s_sub_co_i32 s2, s3, s15
	v_or_b32_e32 v1, s19, v2
	s_ashr_i32 s3, s2, 31
	s_lshl_b64 s[12:13], s[2:3], 2
	s_load_b64 s[2:3], s[0:1], 0x48
	s_wait_kmcnt 0x0
	s_add_nc_u64 s[6:7], s[6:7], s[12:13]
	s_load_b96 s[12:14], s[0:1], 0x50
	v_cmp_gt_i32_e32 vcc_lo, s25, v1
	s_load_b32 s6, s[6:7], 0x0
	s_wait_kmcnt 0x0
	s_ashr_i32 s7, s6, 31
	s_delay_alu instid0(SALU_CYCLE_1) | instskip(NEXT) | instid1(SALU_CYCLE_1)
	s_lshl_b64 s[16:17], s[6:7], 2
	s_add_nc_u64 s[8:9], s[8:9], s[16:17]
	s_load_b64 s[26:27], s[8:9], 0x0
	s_clause 0x1
	s_load_b96 s[16:18], s[0:1], 0x18
	s_load_b96 s[20:22], s[0:1], 0x28
	s_wait_xcnt 0x0
	s_not_b32 s0, s12
	s_wait_kmcnt 0x0
	s_add_co_i32 s23, s27, s0
	v_cmp_eq_u32_e64 s0, 0, v0
	s_sub_co_i32 s26, s26, s12
	s_mul_i32 s7, s6, s18
	s_cmp_lt_i32 s23, s26
	s_cbranch_scc1 .LBB14_18
; %bb.1:
	v_mad_u32 v3, s18, s23, v4
	v_cmp_gt_i32_e64 s1, s18, v4
	s_cmp_lg_u32 s14, 0
	s_mul_i32 s28, s22, s18
	s_cselect_b32 s27, -1, 0
	s_mul_i32 s29, s18, s18
	s_and_b32 s1, vcc_lo, s1
	s_lshl_b32 s30, s18, 6
	v_mov_b32_e32 v6, 0
	v_mul_lo_u32 v5, s18, v3
	v_add_nc_u32_e32 v3, s19, v2
	s_branch .LBB14_3
.LBB14_2:                               ;   in Loop: Header=BB14_3 Depth=1
                                        ; implicit-def: $vgpr5
	s_cbranch_execnz .LBB14_19
.LBB14_3:                               ; =>This Loop Header: Depth=1
                                        ;     Child Loop BB14_7 Depth 2
                                        ;     Child Loop BB14_11 Depth 2
                                        ;       Child Loop BB14_13 Depth 3
	s_wait_xcnt 0x0
	v_mov_b32_e32 v7, s23
	global_load_b32 v7, v7, s[10:11] scale_offset
	s_wait_loadcnt 0x0
	v_readfirstlane_b32 s8, v7
	s_sub_co_i32 s31, s8, s12
	s_delay_alu instid0(SALU_CYCLE_1)
	s_cmp_le_i32 s31, s6
	s_cbranch_scc1 .LBB14_2
; %bb.4:                                ;   in Loop: Header=BB14_3 Depth=1
	s_wait_xcnt 0x0
	s_and_saveexec_b32 s33, s0
	s_cbranch_execz .LBB14_8
; %bb.5:                                ;   in Loop: Header=BB14_3 Depth=1
	s_add_co_i32 s8, s31, s15
	s_delay_alu instid0(SALU_CYCLE_1)
	v_mov_b32_e32 v7, s8
	global_load_b32 v7, v7, s[4:5] scale_offset scope:SCOPE_DEV
	s_wait_loadcnt 0x0
	v_cmp_ne_u32_e32 vcc_lo, 0, v7
	s_cbranch_vccnz .LBB14_8
; %bb.6:                                ;   in Loop: Header=BB14_3 Depth=1
	s_ashr_i32 s9, s8, 31
	s_delay_alu instid0(SALU_CYCLE_1) | instskip(NEXT) | instid1(SALU_CYCLE_1)
	s_lshl_b64 s[8:9], s[8:9], 2
	s_add_nc_u64 s[8:9], s[4:5], s[8:9]
.LBB14_7:                               ;   Parent Loop BB14_3 Depth=1
                                        ; =>  This Inner Loop Header: Depth=2
	global_load_b32 v7, v6, s[8:9] scope:SCOPE_DEV
	s_wait_loadcnt 0x0
	v_cmp_eq_u32_e32 vcc_lo, 0, v7
	s_cbranch_vccnz .LBB14_7
.LBB14_8:                               ;   in Loop: Header=BB14_3 Depth=1
	s_wait_xcnt 0x0
	s_or_b32 exec_lo, exec_lo, s33
	global_wb scope:SCOPE_DEV
	s_wait_storecnt 0x0
	global_inv scope:SCOPE_DEV
	s_wait_loadcnt 0x0
	s_barrier_signal -1
	s_barrier_wait -1
	s_and_saveexec_b32 s8, s1
	s_cbranch_execz .LBB14_17
; %bb.9:                                ;   in Loop: Header=BB14_3 Depth=1
	v_mad_u32 v7, s28, s31, v3
	v_dual_mov_b32 v8, v5 :: v_dual_mov_b32 v9, v4
	s_mul_i32 s9, s23, s18
	s_mov_b32 s33, 0
	s_branch .LBB14_11
.LBB14_10:                              ;   in Loop: Header=BB14_11 Depth=2
	v_dual_add_nc_u32 v11, s7, v9 :: v_dual_add_nc_u32 v9, 64, v9
	v_add_nc_u32_e32 v8, s30, v8
	s_delay_alu instid0(VALU_DEP_2) | instskip(NEXT) | instid1(VALU_DEP_3)
	v_mad_u32 v11, v11, s22, v1
	v_cmp_le_i32_e32 vcc_lo, s18, v9
	s_or_b32 s33, vcc_lo, s33
	global_load_b32 v12, v11, s[20:21] scale_offset
	s_wait_loadcnt 0x0
	v_sub_f32_e32 v10, v12, v10
	global_store_b32 v11, v10, s[20:21] scale_offset
	s_wait_xcnt 0x0
	s_and_not1_b32 exec_lo, exec_lo, s33
	s_cbranch_execz .LBB14_17
.LBB14_11:                              ;   Parent Loop BB14_3 Depth=1
                                        ; =>  This Loop Header: Depth=2
                                        ;       Child Loop BB14_13 Depth 3
	s_delay_alu instid0(VALU_DEP_2)
	v_dual_mov_b32 v10, 0 :: v_dual_mov_b32 v11, v7
	s_mov_b32 s34, 0
	s_branch .LBB14_13
.LBB14_12:                              ;   in Loop: Header=BB14_13 Depth=3
	global_load_b32 v13, v12, s[16:17] scale_offset
	global_load_b32 v14, v11, s[20:21] scale_offset
	s_add_co_i32 s34, s34, 1
	s_wait_xcnt 0x0
	v_add_nc_u32_e32 v11, s22, v11
	s_cmp_eq_u32 s18, s34
	s_wait_loadcnt 0x0
	v_fmac_f32_e32 v10, v13, v14
	s_cbranch_scc1 .LBB14_10
.LBB14_13:                              ;   Parent Loop BB14_3 Depth=1
                                        ;     Parent Loop BB14_11 Depth=2
                                        ; =>    This Inner Loop Header: Depth=3
	s_and_b32 vcc_lo, exec_lo, s27
	s_cbranch_vccz .LBB14_15
; %bb.14:                               ;   in Loop: Header=BB14_13 Depth=3
	s_add_co_i32 s35, s34, s9
	s_delay_alu instid0(SALU_CYCLE_1)
	v_mad_u32 v12, s35, s18, v9
	s_cbranch_execnz .LBB14_12
	s_branch .LBB14_16
.LBB14_15:                              ;   in Loop: Header=BB14_13 Depth=3
                                        ; implicit-def: $vgpr12
.LBB14_16:                              ;   in Loop: Header=BB14_13 Depth=3
	v_add_nc_u32_e32 v12, s34, v8
	s_branch .LBB14_12
.LBB14_17:                              ;   in Loop: Header=BB14_3 Depth=1
	s_or_b32 exec_lo, exec_lo, s8
	s_add_co_i32 s9, s23, -1
	s_cmp_le_i32 s23, s26
	v_subrev_nc_u32_e32 v5, s29, v5
	s_cselect_b32 s8, -1, 0
	s_mov_b32 s23, s9
	s_and_b32 vcc_lo, exec_lo, s8
	s_cbranch_vccz .LBB14_3
	s_branch .LBB14_19
.LBB14_18:
	s_mov_b32 s31, s24
.LBB14_19:
	s_cmp_lt_i32 s6, s24
	v_cmp_gt_i32_e32 vcc_lo, s25, v1
	s_cselect_b32 s0, -1, 0
	s_cmp_eq_u32 s6, s31
	s_mov_b32 s8, 0
	s_cselect_b32 s1, -1, 0
	s_delay_alu instid0(SALU_CYCLE_1) | instskip(NEXT) | instid1(SALU_CYCLE_1)
	s_and_b32 s1, s0, s1
	s_and_b32 s1, s1, vcc_lo
	s_cmp_gt_i32 s18, 0
	s_cselect_b32 s9, -1, 0
	s_delay_alu instid0(SALU_CYCLE_1)
	s_and_b32 s9, s1, s9
	s_wait_xcnt 0x0
	s_and_saveexec_b32 s1, s9
	s_cbranch_execz .LBB14_35
; %bb.20:
	v_add_nc_u32_e32 v3, s7, v4
	s_cmp_eq_u32 s13, 0
	s_mov_b32 s10, 0
	s_cselect_b32 s8, -1, 0
	s_cmp_lg_u32 s14, 0
	v_mul_lo_u32 v3, s22, v3
	s_cselect_b32 s9, -1, 0
	s_add_co_i32 s11, s23, 1
	s_delay_alu instid0(SALU_CYCLE_1) | instskip(SKIP_4) | instid1(VALU_DEP_1)
	s_mul_i32 s13, s18, s11
	s_mul_i32 s11, s23, s18
	s_add_co_i32 s14, s13, -1
	s_lshl_b32 s13, s22, 6
	s_mul_i32 s14, s18, s14
	v_add3_u32 v5, v2, v3, s19
	s_mov_b32 s19, s18
	v_mov_b32_e32 v7, 1.0
	s_and_not1_b32 vcc_lo, exec_lo, s8
	s_add_co_i32 s23, s19, -1
	s_cbranch_vccnz .LBB14_22
.LBB14_21:
	s_add_co_i32 s24, s23, s11
	s_delay_alu instid0(SALU_CYCLE_1) | instskip(NEXT) | instid1(SALU_CYCLE_1)
	s_mul_i32 s24, s24, s18
	s_add_co_i32 s24, s24, s23
	s_delay_alu instid0(SALU_CYCLE_1)
	v_mov_b32_e32 v2, s24
	global_load_b32 v7, v2, s[16:17] scale_offset
.LBB14_22:                              ; =>This Loop Header: Depth=1
                                        ;     Child Loop BB14_27 Depth 2
	s_add_co_i32 s24, s23, s7
	s_wait_loadcnt 0x0
	v_cmp_eq_f32_e32 vcc_lo, 0, v7
	s_wait_xcnt 0x0
	v_mad_u32 v2, s24, s22, v1
	global_load_b32 v6, v2, s[20:21] scale_offset
	s_cbranch_vccnz .LBB14_24
; %bb.23:                               ;   in Loop: Header=BB14_22 Depth=1
	s_wait_loadcnt 0x0
	v_div_scale_f32 v3, null, v7, v7, v6
	s_delay_alu instid0(VALU_DEP_1) | instskip(SKIP_1) | instid1(TRANS32_DEP_1)
	v_rcp_f32_e32 v8, v3
	v_nop
	v_fma_f32 v9, -v3, v8, 1.0
	s_delay_alu instid0(VALU_DEP_1) | instskip(SKIP_1) | instid1(VALU_DEP_1)
	v_fmac_f32_e32 v8, v9, v8
	v_div_scale_f32 v9, vcc_lo, v6, v7, v6
	v_mul_f32_e32 v10, v9, v8
	s_delay_alu instid0(VALU_DEP_1) | instskip(NEXT) | instid1(VALU_DEP_1)
	v_fma_f32 v11, -v3, v10, v9
	v_fmac_f32_e32 v10, v11, v8
	s_delay_alu instid0(VALU_DEP_1) | instskip(SKIP_1) | instid1(VALU_DEP_2)
	v_fma_f32 v9, -v3, v10, v9
	v_ashrrev_i32_e32 v3, 31, v2
	v_div_fmas_f32 v8, v9, v8, v10
	s_wait_xcnt 0x0
	s_delay_alu instid0(VALU_DEP_2) | instskip(NEXT) | instid1(VALU_DEP_2)
	v_lshl_add_u64 v[2:3], v[2:3], 2, s[20:21]
	v_div_fixup_f32 v6, v8, v7, v6
	global_store_b32 v[2:3], v6, off
	s_mov_b32 s24, exec_lo
	s_wait_xcnt 0x0
	v_cmpx_gt_i32_e64 s23, v4
	s_cbranch_execnz .LBB14_25
	s_branch .LBB14_31
.LBB14_24:                              ;   in Loop: Header=BB14_22 Depth=1
	s_mov_b32 s10, -1
	s_mov_b32 s24, exec_lo
	s_wait_xcnt 0x0
	v_cmpx_gt_i32_e64 s23, v4
	s_cbranch_execz .LBB14_31
.LBB14_25:                              ;   in Loop: Header=BB14_22 Depth=1
	v_dual_mov_b32 v2, v5 :: v_dual_mov_b32 v3, v4
	s_mov_b32 s25, 0
	s_branch .LBB14_27
.LBB14_26:                              ;   in Loop: Header=BB14_27 Depth=2
	global_load_b32 v8, v7, s[16:17] scale_offset
	global_load_b32 v9, v2, s[20:21] scale_offset
	s_wait_loadcnt 0x0
	s_wait_xcnt 0x1
	v_dual_add_nc_u32 v3, 64, v3 :: v_dual_fma_f32 v7, -v6, v8, v9
	s_delay_alu instid0(VALU_DEP_1) | instskip(SKIP_4) | instid1(SALU_CYCLE_1)
	v_cmp_le_i32_e32 vcc_lo, s23, v3
	global_store_b32 v2, v7, s[20:21] scale_offset
	s_wait_xcnt 0x0
	v_add_nc_u32_e32 v2, s13, v2
	s_or_b32 s25, vcc_lo, s25
	s_and_not1_b32 exec_lo, exec_lo, s25
	s_cbranch_execz .LBB14_31
.LBB14_27:                              ;   Parent Loop BB14_22 Depth=1
                                        ; =>  This Inner Loop Header: Depth=2
	s_and_b32 vcc_lo, exec_lo, s9
	s_cbranch_vccz .LBB14_29
; %bb.28:                               ;   in Loop: Header=BB14_27 Depth=2
	v_add_nc_u32_e32 v7, s14, v3
	s_cbranch_execnz .LBB14_26
	s_branch .LBB14_30
.LBB14_29:                              ;   in Loop: Header=BB14_27 Depth=2
                                        ; implicit-def: $vgpr7
.LBB14_30:                              ;   in Loop: Header=BB14_27 Depth=2
	v_add_nc_u32_e32 v7, s11, v3
	s_delay_alu instid0(VALU_DEP_1)
	v_mad_u32 v7, v7, s18, s23
	s_branch .LBB14_26
.LBB14_31:                              ;   in Loop: Header=BB14_22 Depth=1
	s_or_b32 exec_lo, exec_lo, s24
; %bb.32:                               ;   in Loop: Header=BB14_22 Depth=1
	s_sub_co_i32 s14, s14, s18
	s_cmp_lt_i32 s19, 2
	s_cbranch_scc1 .LBB14_34
; %bb.33:                               ;   in Loop: Header=BB14_22 Depth=1
	s_mov_b32 s19, s23
	v_mov_b32_e32 v7, 1.0
	s_and_not1_b32 vcc_lo, exec_lo, s8
	s_add_co_i32 s23, s19, -1
	s_cbranch_vccnz .LBB14_22
	s_branch .LBB14_21
.LBB14_34:
	s_and_b32 s8, s10, exec_lo
.LBB14_35:
	s_or_b32 exec_lo, exec_lo, s1
	v_cmp_eq_u32_e32 vcc_lo, 0, v0
	global_wb scope:SCOPE_DEV
	s_wait_loadcnt 0x0
	s_wait_storecnt 0x0
	global_inv scope:SCOPE_DEV
	s_wait_loadcnt 0x0
	s_barrier_signal -1
	s_barrier_wait -1
	s_and_b32 s0, vcc_lo, s0
	s_delay_alu instid0(SALU_CYCLE_1)
	s_and_saveexec_b32 s1, s0
	s_cbranch_execz .LBB14_39
; %bb.36:
	s_add_co_i32 s0, s6, s15
	s_delay_alu instid0(SALU_CYCLE_1)
	v_dual_mov_b32 v0, 1 :: v_dual_mov_b32 v1, s0
	global_store_b32 v1, v0, s[4:5] scale_offset scope:SCOPE_DEV
	s_wait_xcnt 0x0
	s_and_b32 exec_lo, exec_lo, s8
	s_cbranch_execz .LBB14_39
; %bb.37:
	v_mbcnt_lo_u32_b32 v0, exec_lo, 0
	s_delay_alu instid0(VALU_DEP_1)
	v_cmp_eq_u32_e32 vcc_lo, 0, v0
	s_and_b32 exec_lo, exec_lo, vcc_lo
	s_cbranch_execz .LBB14_39
; %bb.38:
	s_add_co_i32 s0, s6, s12
	s_delay_alu instid0(SALU_CYCLE_1)
	v_dual_mov_b32 v0, 0 :: v_dual_mov_b32 v1, s0
	global_atomic_min_i32 v0, v1, s[2:3] scope:SCOPE_DEV
.LBB14_39:
	s_endpgm
	.section	.rodata,"a",@progbits
	.p2align	6, 0x0
	.amdhsa_kernel _ZN9rocsparseL24bsrsm_upper_large_kernelILj1024ELj16ELb0EfEEviiPKiS2_PKT2_iPS3_iPiS2_S7_21rocsparse_index_base_20rocsparse_diag_type_20rocsparse_direction_
		.amdhsa_group_segment_fixed_size 0
		.amdhsa_private_segment_fixed_size 0
		.amdhsa_kernarg_size 92
		.amdhsa_user_sgpr_count 2
		.amdhsa_user_sgpr_dispatch_ptr 0
		.amdhsa_user_sgpr_queue_ptr 0
		.amdhsa_user_sgpr_kernarg_segment_ptr 1
		.amdhsa_user_sgpr_dispatch_id 0
		.amdhsa_user_sgpr_kernarg_preload_length 0
		.amdhsa_user_sgpr_kernarg_preload_offset 0
		.amdhsa_user_sgpr_private_segment_size 0
		.amdhsa_wavefront_size32 1
		.amdhsa_uses_dynamic_stack 0
		.amdhsa_enable_private_segment 0
		.amdhsa_system_sgpr_workgroup_id_x 1
		.amdhsa_system_sgpr_workgroup_id_y 0
		.amdhsa_system_sgpr_workgroup_id_z 0
		.amdhsa_system_sgpr_workgroup_info 0
		.amdhsa_system_vgpr_workitem_id 0
		.amdhsa_next_free_vgpr 15
		.amdhsa_next_free_sgpr 36
		.amdhsa_named_barrier_count 0
		.amdhsa_reserve_vcc 1
		.amdhsa_float_round_mode_32 0
		.amdhsa_float_round_mode_16_64 0
		.amdhsa_float_denorm_mode_32 3
		.amdhsa_float_denorm_mode_16_64 3
		.amdhsa_fp16_overflow 0
		.amdhsa_memory_ordered 1
		.amdhsa_forward_progress 1
		.amdhsa_inst_pref_size 13
		.amdhsa_round_robin_scheduling 0
		.amdhsa_exception_fp_ieee_invalid_op 0
		.amdhsa_exception_fp_denorm_src 0
		.amdhsa_exception_fp_ieee_div_zero 0
		.amdhsa_exception_fp_ieee_overflow 0
		.amdhsa_exception_fp_ieee_underflow 0
		.amdhsa_exception_fp_ieee_inexact 0
		.amdhsa_exception_int_div_zero 0
	.end_amdhsa_kernel
	.section	.text._ZN9rocsparseL24bsrsm_upper_large_kernelILj1024ELj16ELb0EfEEviiPKiS2_PKT2_iPS3_iPiS2_S7_21rocsparse_index_base_20rocsparse_diag_type_20rocsparse_direction_,"axG",@progbits,_ZN9rocsparseL24bsrsm_upper_large_kernelILj1024ELj16ELb0EfEEviiPKiS2_PKT2_iPS3_iPiS2_S7_21rocsparse_index_base_20rocsparse_diag_type_20rocsparse_direction_,comdat
.Lfunc_end14:
	.size	_ZN9rocsparseL24bsrsm_upper_large_kernelILj1024ELj16ELb0EfEEviiPKiS2_PKT2_iPS3_iPiS2_S7_21rocsparse_index_base_20rocsparse_diag_type_20rocsparse_direction_, .Lfunc_end14-_ZN9rocsparseL24bsrsm_upper_large_kernelILj1024ELj16ELb0EfEEviiPKiS2_PKT2_iPS3_iPiS2_S7_21rocsparse_index_base_20rocsparse_diag_type_20rocsparse_direction_
                                        ; -- End function
	.set _ZN9rocsparseL24bsrsm_upper_large_kernelILj1024ELj16ELb0EfEEviiPKiS2_PKT2_iPS3_iPiS2_S7_21rocsparse_index_base_20rocsparse_diag_type_20rocsparse_direction_.num_vgpr, 15
	.set _ZN9rocsparseL24bsrsm_upper_large_kernelILj1024ELj16ELb0EfEEviiPKiS2_PKT2_iPS3_iPiS2_S7_21rocsparse_index_base_20rocsparse_diag_type_20rocsparse_direction_.num_agpr, 0
	.set _ZN9rocsparseL24bsrsm_upper_large_kernelILj1024ELj16ELb0EfEEviiPKiS2_PKT2_iPS3_iPiS2_S7_21rocsparse_index_base_20rocsparse_diag_type_20rocsparse_direction_.numbered_sgpr, 36
	.set _ZN9rocsparseL24bsrsm_upper_large_kernelILj1024ELj16ELb0EfEEviiPKiS2_PKT2_iPS3_iPiS2_S7_21rocsparse_index_base_20rocsparse_diag_type_20rocsparse_direction_.num_named_barrier, 0
	.set _ZN9rocsparseL24bsrsm_upper_large_kernelILj1024ELj16ELb0EfEEviiPKiS2_PKT2_iPS3_iPiS2_S7_21rocsparse_index_base_20rocsparse_diag_type_20rocsparse_direction_.private_seg_size, 0
	.set _ZN9rocsparseL24bsrsm_upper_large_kernelILj1024ELj16ELb0EfEEviiPKiS2_PKT2_iPS3_iPiS2_S7_21rocsparse_index_base_20rocsparse_diag_type_20rocsparse_direction_.uses_vcc, 1
	.set _ZN9rocsparseL24bsrsm_upper_large_kernelILj1024ELj16ELb0EfEEviiPKiS2_PKT2_iPS3_iPiS2_S7_21rocsparse_index_base_20rocsparse_diag_type_20rocsparse_direction_.uses_flat_scratch, 0
	.set _ZN9rocsparseL24bsrsm_upper_large_kernelILj1024ELj16ELb0EfEEviiPKiS2_PKT2_iPS3_iPiS2_S7_21rocsparse_index_base_20rocsparse_diag_type_20rocsparse_direction_.has_dyn_sized_stack, 0
	.set _ZN9rocsparseL24bsrsm_upper_large_kernelILj1024ELj16ELb0EfEEviiPKiS2_PKT2_iPS3_iPiS2_S7_21rocsparse_index_base_20rocsparse_diag_type_20rocsparse_direction_.has_recursion, 0
	.set _ZN9rocsparseL24bsrsm_upper_large_kernelILj1024ELj16ELb0EfEEviiPKiS2_PKT2_iPS3_iPiS2_S7_21rocsparse_index_base_20rocsparse_diag_type_20rocsparse_direction_.has_indirect_call, 0
	.section	.AMDGPU.csdata,"",@progbits
; Kernel info:
; codeLenInByte = 1604
; TotalNumSgprs: 38
; NumVgprs: 15
; ScratchSize: 0
; MemoryBound: 0
; FloatMode: 240
; IeeeMode: 1
; LDSByteSize: 0 bytes/workgroup (compile time only)
; SGPRBlocks: 0
; VGPRBlocks: 0
; NumSGPRsForWavesPerEU: 38
; NumVGPRsForWavesPerEU: 15
; NamedBarCnt: 0
; Occupancy: 16
; WaveLimiterHint : 1
; COMPUTE_PGM_RSRC2:SCRATCH_EN: 0
; COMPUTE_PGM_RSRC2:USER_SGPR: 2
; COMPUTE_PGM_RSRC2:TRAP_HANDLER: 0
; COMPUTE_PGM_RSRC2:TGID_X_EN: 1
; COMPUTE_PGM_RSRC2:TGID_Y_EN: 0
; COMPUTE_PGM_RSRC2:TGID_Z_EN: 0
; COMPUTE_PGM_RSRC2:TIDIG_COMP_CNT: 0
	.section	.text._ZN9rocsparseL24bsrsm_lower_large_kernelILj1024ELj16ELb0EfEEviiPKiS2_PKT2_iPS3_iPiS2_S7_21rocsparse_index_base_20rocsparse_diag_type_20rocsparse_direction_,"axG",@progbits,_ZN9rocsparseL24bsrsm_lower_large_kernelILj1024ELj16ELb0EfEEviiPKiS2_PKT2_iPS3_iPiS2_S7_21rocsparse_index_base_20rocsparse_diag_type_20rocsparse_direction_,comdat
	.globl	_ZN9rocsparseL24bsrsm_lower_large_kernelILj1024ELj16ELb0EfEEviiPKiS2_PKT2_iPS3_iPiS2_S7_21rocsparse_index_base_20rocsparse_diag_type_20rocsparse_direction_ ; -- Begin function _ZN9rocsparseL24bsrsm_lower_large_kernelILj1024ELj16ELb0EfEEviiPKiS2_PKT2_iPS3_iPiS2_S7_21rocsparse_index_base_20rocsparse_diag_type_20rocsparse_direction_
	.p2align	8
	.type	_ZN9rocsparseL24bsrsm_lower_large_kernelILj1024ELj16ELb0EfEEviiPKiS2_PKT2_iPS3_iPiS2_S7_21rocsparse_index_base_20rocsparse_diag_type_20rocsparse_direction_,@function
_ZN9rocsparseL24bsrsm_lower_large_kernelILj1024ELj16ELb0EfEEviiPKiS2_PKT2_iPS3_iPiS2_S7_21rocsparse_index_base_20rocsparse_diag_type_20rocsparse_direction_: ; @_ZN9rocsparseL24bsrsm_lower_large_kernelILj1024ELj16ELb0EfEEviiPKiS2_PKT2_iPS3_iPiS2_S7_21rocsparse_index_base_20rocsparse_diag_type_20rocsparse_direction_
; %bb.0:
	s_clause 0x1
	s_load_b64 s[24:25], s[0:1], 0x0
	s_load_b128 s[8:11], s[0:1], 0x8
	s_bfe_u32 s4, ttmp6, 0x4000c
	s_and_b32 s3, ttmp6, 15
	s_add_co_i32 s4, s4, 1
	s_getreg_b32 s5, hwreg(HW_REG_IB_STS2, 6, 4)
	s_mul_i32 s4, ttmp9, s4
	v_dual_lshrrev_b32 v2, 6, v0 :: v_dual_bitop2_b32 v3, 63, v0 bitop3:0x40
	s_add_co_i32 s3, s3, s4
	s_wait_kmcnt 0x0
	s_cvt_f32_u32 s2, s24
	s_sub_co_i32 s6, 0, s24
	s_delay_alu instid0(SALU_CYCLE_2) | instskip(SKIP_1) | instid1(TRANS32_DEP_1)
	v_rcp_iflag_f32_e32 v1, s2
	v_nop
	v_readfirstlane_b32 s2, v1
	s_mul_f32 s2, s2, 0x4f7ffffe
	s_delay_alu instid0(SALU_CYCLE_3) | instskip(NEXT) | instid1(SALU_CYCLE_3)
	s_cvt_u32_f32 s2, s2
	s_mul_i32 s6, s6, s2
	s_delay_alu instid0(SALU_CYCLE_1) | instskip(NEXT) | instid1(SALU_CYCLE_1)
	s_mul_hi_u32 s6, s2, s6
	s_add_co_i32 s2, s2, s6
	s_cmp_eq_u32 s5, 0
	s_load_b128 s[4:7], s[0:1], 0x38
	s_cselect_b32 s3, ttmp9, s3
	s_delay_alu instid0(SALU_CYCLE_1) | instskip(NEXT) | instid1(SALU_CYCLE_1)
	s_mul_hi_u32 s2, s3, s2
	s_mul_i32 s12, s2, s24
	s_add_co_i32 s13, s2, 1
	s_sub_co_i32 s12, s3, s12
	s_delay_alu instid0(SALU_CYCLE_1)
	s_sub_co_i32 s14, s12, s24
	s_cmp_ge_u32 s12, s24
	s_cselect_b32 s2, s13, s2
	s_cselect_b32 s12, s14, s12
	s_add_co_i32 s13, s2, 1
	s_cmp_ge_u32 s12, s24
	s_cselect_b32 s19, s13, s2
	s_delay_alu instid0(SALU_CYCLE_1) | instskip(SKIP_4) | instid1(SALU_CYCLE_1)
	s_mul_i32 s15, s19, s24
	s_lshl_b32 s19, s19, 4
	s_sub_co_i32 s2, s3, s15
	v_or_b32_e32 v1, s19, v2
	s_ashr_i32 s3, s2, 31
	s_lshl_b64 s[12:13], s[2:3], 2
	s_load_b64 s[2:3], s[0:1], 0x48
	s_wait_kmcnt 0x0
	s_add_nc_u64 s[6:7], s[6:7], s[12:13]
	v_cmp_gt_i32_e32 vcc_lo, s25, v1
	s_load_b32 s6, s[6:7], 0x0
	s_wait_kmcnt 0x0
	s_ashr_i32 s7, s6, 31
	s_delay_alu instid0(SALU_CYCLE_1) | instskip(NEXT) | instid1(SALU_CYCLE_1)
	s_lshl_b64 s[12:13], s[6:7], 2
	s_add_nc_u64 s[26:27], s[8:9], s[12:13]
	s_load_b96 s[12:14], s[0:1], 0x50
	s_load_b64 s[8:9], s[26:27], 0x0
	s_clause 0x1
	s_load_b96 s[16:18], s[0:1], 0x18
	s_load_b96 s[20:22], s[0:1], 0x28
	s_wait_xcnt 0x0
	v_cmp_eq_u32_e64 s0, 0, v0
	s_wait_kmcnt 0x0
	s_sub_co_i32 s23, s8, s12
	s_cmp_ge_i32 s8, s9
	s_mul_i32 s7, s6, s18
	s_mul_i32 s26, s18, s18
	s_cbranch_scc1 .LBB15_18
; %bb.1:
	v_mad_u32 v4, s18, s23, v3
	v_cmp_gt_i32_e64 s1, s18, v3
	s_sub_co_i32 s27, s9, s12
	v_dual_mov_b32 v6, 0 :: v_dual_add_nc_u32 v5, s19, v2
	s_cmp_lg_u32 s14, 0
	s_mul_i32 s29, s22, s18
	s_cselect_b32 s28, -1, 0
	s_and_b32 s1, vcc_lo, s1
	s_lshl_b32 s30, s18, 6
	v_mul_lo_u32 v4, s18, v4
	s_branch .LBB15_3
.LBB15_2:                               ;   in Loop: Header=BB15_3 Depth=1
                                        ; implicit-def: $vgpr4
	s_and_b32 vcc_lo, exec_lo, s8
	s_cbranch_vccnz .LBB15_19
.LBB15_3:                               ; =>This Loop Header: Depth=1
                                        ;     Child Loop BB15_7 Depth 2
                                        ;     Child Loop BB15_11 Depth 2
                                        ;       Child Loop BB15_13 Depth 3
	s_wait_xcnt 0x0
	v_mov_b32_e32 v7, s23
	global_load_b32 v7, v7, s[10:11] scale_offset
	s_wait_loadcnt 0x0
	v_readfirstlane_b32 s8, v7
	s_sub_co_i32 s31, s8, s12
	s_mov_b32 s8, -1
	s_cmp_ge_i32 s31, s6
	s_cbranch_scc1 .LBB15_2
; %bb.4:                                ;   in Loop: Header=BB15_3 Depth=1
	s_wait_xcnt 0x0
	s_and_saveexec_b32 s33, s0
	s_cbranch_execz .LBB15_8
; %bb.5:                                ;   in Loop: Header=BB15_3 Depth=1
	s_add_co_i32 s8, s31, s15
	s_delay_alu instid0(SALU_CYCLE_1)
	v_mov_b32_e32 v7, s8
	global_load_b32 v7, v7, s[4:5] scale_offset scope:SCOPE_DEV
	s_wait_loadcnt 0x0
	v_cmp_ne_u32_e32 vcc_lo, 0, v7
	s_cbranch_vccnz .LBB15_8
; %bb.6:                                ;   in Loop: Header=BB15_3 Depth=1
	s_ashr_i32 s9, s8, 31
	s_delay_alu instid0(SALU_CYCLE_1) | instskip(NEXT) | instid1(SALU_CYCLE_1)
	s_lshl_b64 s[8:9], s[8:9], 2
	s_add_nc_u64 s[8:9], s[4:5], s[8:9]
.LBB15_7:                               ;   Parent Loop BB15_3 Depth=1
                                        ; =>  This Inner Loop Header: Depth=2
	global_load_b32 v7, v6, s[8:9] scope:SCOPE_DEV
	s_wait_loadcnt 0x0
	v_cmp_eq_u32_e32 vcc_lo, 0, v7
	s_cbranch_vccnz .LBB15_7
.LBB15_8:                               ;   in Loop: Header=BB15_3 Depth=1
	s_wait_xcnt 0x0
	s_or_b32 exec_lo, exec_lo, s33
	global_wb scope:SCOPE_DEV
	s_wait_storecnt 0x0
	global_inv scope:SCOPE_DEV
	s_wait_loadcnt 0x0
	s_barrier_signal -1
	s_barrier_wait -1
	s_and_saveexec_b32 s8, s1
	s_cbranch_execz .LBB15_17
; %bb.9:                                ;   in Loop: Header=BB15_3 Depth=1
	v_mad_u32 v7, s29, s31, v5
	v_dual_mov_b32 v8, v4 :: v_dual_mov_b32 v9, v3
	s_mul_i32 s9, s23, s18
	s_mov_b32 s33, 0
	s_branch .LBB15_11
.LBB15_10:                              ;   in Loop: Header=BB15_11 Depth=2
	v_dual_add_nc_u32 v11, s7, v9 :: v_dual_add_nc_u32 v9, 64, v9
	v_add_nc_u32_e32 v8, s30, v8
	s_delay_alu instid0(VALU_DEP_2) | instskip(NEXT) | instid1(VALU_DEP_3)
	v_mad_u32 v11, v11, s22, v1
	v_cmp_le_i32_e32 vcc_lo, s18, v9
	s_or_b32 s33, vcc_lo, s33
	global_load_b32 v12, v11, s[20:21] scale_offset
	s_wait_loadcnt 0x0
	v_sub_f32_e32 v10, v12, v10
	global_store_b32 v11, v10, s[20:21] scale_offset
	s_wait_xcnt 0x0
	s_and_not1_b32 exec_lo, exec_lo, s33
	s_cbranch_execz .LBB15_17
.LBB15_11:                              ;   Parent Loop BB15_3 Depth=1
                                        ; =>  This Loop Header: Depth=2
                                        ;       Child Loop BB15_13 Depth 3
	s_delay_alu instid0(VALU_DEP_2)
	v_dual_mov_b32 v10, 0 :: v_dual_mov_b32 v11, v7
	s_mov_b32 s34, 0
	s_branch .LBB15_13
.LBB15_12:                              ;   in Loop: Header=BB15_13 Depth=3
	global_load_b32 v13, v12, s[16:17] scale_offset
	global_load_b32 v14, v11, s[20:21] scale_offset
	s_add_co_i32 s34, s34, 1
	s_wait_xcnt 0x0
	v_add_nc_u32_e32 v11, s22, v11
	s_cmp_eq_u32 s18, s34
	s_wait_loadcnt 0x0
	v_fmac_f32_e32 v10, v13, v14
	s_cbranch_scc1 .LBB15_10
.LBB15_13:                              ;   Parent Loop BB15_3 Depth=1
                                        ;     Parent Loop BB15_11 Depth=2
                                        ; =>    This Inner Loop Header: Depth=3
	s_and_b32 vcc_lo, exec_lo, s28
	s_cbranch_vccz .LBB15_15
; %bb.14:                               ;   in Loop: Header=BB15_13 Depth=3
	s_add_co_i32 s35, s34, s9
	s_delay_alu instid0(SALU_CYCLE_1)
	v_mad_u32 v12, s35, s18, v9
	s_cbranch_execnz .LBB15_12
	s_branch .LBB15_16
.LBB15_15:                              ;   in Loop: Header=BB15_13 Depth=3
                                        ; implicit-def: $vgpr12
.LBB15_16:                              ;   in Loop: Header=BB15_13 Depth=3
	v_add_nc_u32_e32 v12, s34, v8
	s_branch .LBB15_12
.LBB15_17:                              ;   in Loop: Header=BB15_3 Depth=1
	s_or_b32 exec_lo, exec_lo, s8
	s_add_co_i32 s23, s23, 1
	v_add_nc_u32_e32 v4, s26, v4
	s_cmp_ge_i32 s23, s27
	s_cselect_b32 s8, -1, 0
	s_delay_alu instid0(SALU_CYCLE_1)
	s_and_b32 vcc_lo, exec_lo, s8
	s_cbranch_vccz .LBB15_3
	s_branch .LBB15_19
.LBB15_18:
	s_mov_b32 s31, s24
.LBB15_19:
	s_cmp_lt_i32 s6, s24
	v_cmp_gt_i32_e32 vcc_lo, s25, v1
	s_cselect_b32 s0, -1, 0
	s_cmp_eq_u32 s6, s31
	s_mov_b32 s8, 0
	s_cselect_b32 s1, -1, 0
	s_delay_alu instid0(SALU_CYCLE_1) | instskip(NEXT) | instid1(SALU_CYCLE_1)
	s_and_b32 s1, s0, s1
	s_and_b32 s1, s1, vcc_lo
	s_cmp_gt_i32 s18, 0
	s_cselect_b32 s9, -1, 0
	s_delay_alu instid0(SALU_CYCLE_1)
	s_and_b32 s9, s1, s9
	s_wait_xcnt 0x0
	s_and_saveexec_b32 s1, s9
	s_cbranch_execz .LBB15_34
; %bb.20:
	v_add_nc_u32_e32 v4, s7, v3
	s_cmp_eq_u32 s13, 0
	s_mul_i32 s10, s23, s18
	s_cselect_b32 s9, -1, 0
	s_cmp_lg_u32 s14, 0
	v_mad_u32 v5, s22, v4, s22
	v_add_nc_u32_e32 v4, 1, v3
	s_cselect_b32 s11, -1, 0
	s_lshl_b32 s13, s22, 6
	s_mul_i32 s14, s23, s26
	s_mov_b32 s23, 0
	s_delay_alu instid0(VALU_DEP_2)
	v_add3_u32 v5, v2, v5, s19
	s_add_co_i32 s19, s18, 1
	s_branch .LBB15_22
.LBB15_21:                              ;   in Loop: Header=BB15_22 Depth=1
	s_or_b32 exec_lo, exec_lo, s24
	v_add_nc_u32_e32 v5, s22, v5
	s_add_co_i32 s8, s8, 1
	s_add_co_i32 s14, s14, s19
	s_cmp_eq_u32 s8, s18
	s_cbranch_scc1 .LBB15_33
.LBB15_22:                              ; =>This Loop Header: Depth=1
                                        ;     Child Loop BB15_29 Depth 2
	v_mov_b32_e32 v7, 1.0
	s_and_not1_b32 vcc_lo, exec_lo, s9
	s_cbranch_vccnz .LBB15_24
; %bb.23:                               ;   in Loop: Header=BB15_22 Depth=1
	s_add_co_i32 s24, s8, s10
	s_delay_alu instid0(SALU_CYCLE_1) | instskip(NEXT) | instid1(SALU_CYCLE_1)
	s_mul_i32 s24, s24, s18
	s_add_co_i32 s24, s24, s8
	s_delay_alu instid0(SALU_CYCLE_1)
	v_mov_b32_e32 v2, s24
	global_load_b32 v7, v2, s[16:17] scale_offset
.LBB15_24:                              ;   in Loop: Header=BB15_22 Depth=1
	s_add_co_i32 s24, s8, s7
	s_wait_loadcnt 0x0
	v_cmp_eq_f32_e32 vcc_lo, 0, v7
	s_wait_xcnt 0x0
	v_mad_u32 v2, s24, s22, v1
	global_load_b32 v6, v2, s[20:21] scale_offset
	s_cbranch_vccnz .LBB15_26
; %bb.25:                               ;   in Loop: Header=BB15_22 Depth=1
	s_wait_loadcnt 0x0
	v_div_scale_f32 v3, null, v7, v7, v6
	s_delay_alu instid0(VALU_DEP_1) | instskip(SKIP_1) | instid1(TRANS32_DEP_1)
	v_rcp_f32_e32 v8, v3
	v_nop
	v_fma_f32 v9, -v3, v8, 1.0
	s_delay_alu instid0(VALU_DEP_1) | instskip(SKIP_1) | instid1(VALU_DEP_1)
	v_fmac_f32_e32 v8, v9, v8
	v_div_scale_f32 v9, vcc_lo, v6, v7, v6
	v_mul_f32_e32 v10, v9, v8
	s_delay_alu instid0(VALU_DEP_1) | instskip(NEXT) | instid1(VALU_DEP_1)
	v_fma_f32 v11, -v3, v10, v9
	v_fmac_f32_e32 v10, v11, v8
	s_delay_alu instid0(VALU_DEP_1) | instskip(SKIP_1) | instid1(VALU_DEP_2)
	v_fma_f32 v9, -v3, v10, v9
	v_ashrrev_i32_e32 v3, 31, v2
	v_div_fmas_f32 v8, v9, v8, v10
	s_wait_xcnt 0x0
	s_delay_alu instid0(VALU_DEP_2) | instskip(NEXT) | instid1(VALU_DEP_2)
	v_lshl_add_u64 v[2:3], v[2:3], 2, s[20:21]
	v_div_fixup_f32 v6, v8, v7, v6
	global_store_b32 v[2:3], v6, off
	s_wait_xcnt 0x0
	v_add_nc_u32_e32 v2, s8, v4
	s_mov_b32 s24, exec_lo
	s_delay_alu instid0(VALU_DEP_1)
	v_cmpx_gt_i32_e64 s18, v2
	s_cbranch_execz .LBB15_21
	s_branch .LBB15_27
.LBB15_26:                              ;   in Loop: Header=BB15_22 Depth=1
	s_mov_b32 s23, -1
	s_wait_xcnt 0x0
	v_add_nc_u32_e32 v2, s8, v4
	s_mov_b32 s24, exec_lo
	s_delay_alu instid0(VALU_DEP_1)
	v_cmpx_gt_i32_e64 s18, v2
	s_cbranch_execz .LBB15_21
.LBB15_27:                              ;   in Loop: Header=BB15_22 Depth=1
	v_dual_mov_b32 v3, v5 :: v_dual_mov_b32 v7, v4
	s_mov_b32 s25, 0
	s_branch .LBB15_29
.LBB15_28:                              ;   in Loop: Header=BB15_29 Depth=2
	global_load_b32 v9, v8, s[16:17] scale_offset
	global_load_b32 v10, v3, s[20:21] scale_offset
	v_dual_add_nc_u32 v7, 64, v7 :: v_dual_add_nc_u32 v2, 64, v2
	s_wait_loadcnt 0x0
	s_wait_xcnt 0x1
	s_delay_alu instid0(VALU_DEP_1)
	v_dual_fma_f32 v9, -v6, v9, v10 :: v_dual_add_nc_u32 v8, s8, v7
	global_store_b32 v3, v9, s[20:21] scale_offset
	v_cmp_le_i32_e32 vcc_lo, s18, v8
	s_wait_xcnt 0x0
	v_add_nc_u32_e32 v3, s13, v3
	s_or_b32 s25, vcc_lo, s25
	s_delay_alu instid0(SALU_CYCLE_1)
	s_and_not1_b32 exec_lo, exec_lo, s25
	s_cbranch_execz .LBB15_21
.LBB15_29:                              ;   Parent Loop BB15_22 Depth=1
                                        ; =>  This Inner Loop Header: Depth=2
	s_and_b32 vcc_lo, exec_lo, s11
	s_cbranch_vccz .LBB15_31
; %bb.30:                               ;   in Loop: Header=BB15_29 Depth=2
	v_add_nc_u32_e32 v8, s14, v7
	s_cbranch_execnz .LBB15_28
	s_branch .LBB15_32
.LBB15_31:                              ;   in Loop: Header=BB15_29 Depth=2
                                        ; implicit-def: $vgpr8
.LBB15_32:                              ;   in Loop: Header=BB15_29 Depth=2
	v_add_nc_u32_e32 v8, s10, v2
	s_delay_alu instid0(VALU_DEP_1)
	v_mad_u32 v8, v8, s18, s8
	s_branch .LBB15_28
.LBB15_33:
	s_and_b32 s8, s23, exec_lo
.LBB15_34:
	s_or_b32 exec_lo, exec_lo, s1
	v_cmp_eq_u32_e32 vcc_lo, 0, v0
	global_wb scope:SCOPE_DEV
	s_wait_loadcnt 0x0
	s_wait_storecnt 0x0
	global_inv scope:SCOPE_DEV
	s_wait_loadcnt 0x0
	s_barrier_signal -1
	s_barrier_wait -1
	s_and_b32 s0, vcc_lo, s0
	s_delay_alu instid0(SALU_CYCLE_1)
	s_and_saveexec_b32 s1, s0
	s_cbranch_execz .LBB15_38
; %bb.35:
	s_add_co_i32 s0, s6, s15
	s_delay_alu instid0(SALU_CYCLE_1)
	v_dual_mov_b32 v0, 1 :: v_dual_mov_b32 v1, s0
	global_store_b32 v1, v0, s[4:5] scale_offset scope:SCOPE_DEV
	s_wait_xcnt 0x0
	s_and_b32 exec_lo, exec_lo, s8
	s_cbranch_execz .LBB15_38
; %bb.36:
	v_mbcnt_lo_u32_b32 v0, exec_lo, 0
	s_delay_alu instid0(VALU_DEP_1)
	v_cmp_eq_u32_e32 vcc_lo, 0, v0
	s_and_b32 exec_lo, exec_lo, vcc_lo
	s_cbranch_execz .LBB15_38
; %bb.37:
	s_add_co_i32 s0, s6, s12
	s_delay_alu instid0(SALU_CYCLE_1)
	v_dual_mov_b32 v0, 0 :: v_dual_mov_b32 v1, s0
	global_atomic_min_i32 v0, v1, s[2:3] scope:SCOPE_DEV
.LBB15_38:
	s_endpgm
	.section	.rodata,"a",@progbits
	.p2align	6, 0x0
	.amdhsa_kernel _ZN9rocsparseL24bsrsm_lower_large_kernelILj1024ELj16ELb0EfEEviiPKiS2_PKT2_iPS3_iPiS2_S7_21rocsparse_index_base_20rocsparse_diag_type_20rocsparse_direction_
		.amdhsa_group_segment_fixed_size 0
		.amdhsa_private_segment_fixed_size 0
		.amdhsa_kernarg_size 92
		.amdhsa_user_sgpr_count 2
		.amdhsa_user_sgpr_dispatch_ptr 0
		.amdhsa_user_sgpr_queue_ptr 0
		.amdhsa_user_sgpr_kernarg_segment_ptr 1
		.amdhsa_user_sgpr_dispatch_id 0
		.amdhsa_user_sgpr_kernarg_preload_length 0
		.amdhsa_user_sgpr_kernarg_preload_offset 0
		.amdhsa_user_sgpr_private_segment_size 0
		.amdhsa_wavefront_size32 1
		.amdhsa_uses_dynamic_stack 0
		.amdhsa_enable_private_segment 0
		.amdhsa_system_sgpr_workgroup_id_x 1
		.amdhsa_system_sgpr_workgroup_id_y 0
		.amdhsa_system_sgpr_workgroup_id_z 0
		.amdhsa_system_sgpr_workgroup_info 0
		.amdhsa_system_vgpr_workitem_id 0
		.amdhsa_next_free_vgpr 15
		.amdhsa_next_free_sgpr 36
		.amdhsa_named_barrier_count 0
		.amdhsa_reserve_vcc 1
		.amdhsa_float_round_mode_32 0
		.amdhsa_float_round_mode_16_64 0
		.amdhsa_float_denorm_mode_32 3
		.amdhsa_float_denorm_mode_16_64 3
		.amdhsa_fp16_overflow 0
		.amdhsa_memory_ordered 1
		.amdhsa_forward_progress 1
		.amdhsa_inst_pref_size 13
		.amdhsa_round_robin_scheduling 0
		.amdhsa_exception_fp_ieee_invalid_op 0
		.amdhsa_exception_fp_denorm_src 0
		.amdhsa_exception_fp_ieee_div_zero 0
		.amdhsa_exception_fp_ieee_overflow 0
		.amdhsa_exception_fp_ieee_underflow 0
		.amdhsa_exception_fp_ieee_inexact 0
		.amdhsa_exception_int_div_zero 0
	.end_amdhsa_kernel
	.section	.text._ZN9rocsparseL24bsrsm_lower_large_kernelILj1024ELj16ELb0EfEEviiPKiS2_PKT2_iPS3_iPiS2_S7_21rocsparse_index_base_20rocsparse_diag_type_20rocsparse_direction_,"axG",@progbits,_ZN9rocsparseL24bsrsm_lower_large_kernelILj1024ELj16ELb0EfEEviiPKiS2_PKT2_iPS3_iPiS2_S7_21rocsparse_index_base_20rocsparse_diag_type_20rocsparse_direction_,comdat
.Lfunc_end15:
	.size	_ZN9rocsparseL24bsrsm_lower_large_kernelILj1024ELj16ELb0EfEEviiPKiS2_PKT2_iPS3_iPiS2_S7_21rocsparse_index_base_20rocsparse_diag_type_20rocsparse_direction_, .Lfunc_end15-_ZN9rocsparseL24bsrsm_lower_large_kernelILj1024ELj16ELb0EfEEviiPKiS2_PKT2_iPS3_iPiS2_S7_21rocsparse_index_base_20rocsparse_diag_type_20rocsparse_direction_
                                        ; -- End function
	.set _ZN9rocsparseL24bsrsm_lower_large_kernelILj1024ELj16ELb0EfEEviiPKiS2_PKT2_iPS3_iPiS2_S7_21rocsparse_index_base_20rocsparse_diag_type_20rocsparse_direction_.num_vgpr, 15
	.set _ZN9rocsparseL24bsrsm_lower_large_kernelILj1024ELj16ELb0EfEEviiPKiS2_PKT2_iPS3_iPiS2_S7_21rocsparse_index_base_20rocsparse_diag_type_20rocsparse_direction_.num_agpr, 0
	.set _ZN9rocsparseL24bsrsm_lower_large_kernelILj1024ELj16ELb0EfEEviiPKiS2_PKT2_iPS3_iPiS2_S7_21rocsparse_index_base_20rocsparse_diag_type_20rocsparse_direction_.numbered_sgpr, 36
	.set _ZN9rocsparseL24bsrsm_lower_large_kernelILj1024ELj16ELb0EfEEviiPKiS2_PKT2_iPS3_iPiS2_S7_21rocsparse_index_base_20rocsparse_diag_type_20rocsparse_direction_.num_named_barrier, 0
	.set _ZN9rocsparseL24bsrsm_lower_large_kernelILj1024ELj16ELb0EfEEviiPKiS2_PKT2_iPS3_iPiS2_S7_21rocsparse_index_base_20rocsparse_diag_type_20rocsparse_direction_.private_seg_size, 0
	.set _ZN9rocsparseL24bsrsm_lower_large_kernelILj1024ELj16ELb0EfEEviiPKiS2_PKT2_iPS3_iPiS2_S7_21rocsparse_index_base_20rocsparse_diag_type_20rocsparse_direction_.uses_vcc, 1
	.set _ZN9rocsparseL24bsrsm_lower_large_kernelILj1024ELj16ELb0EfEEviiPKiS2_PKT2_iPS3_iPiS2_S7_21rocsparse_index_base_20rocsparse_diag_type_20rocsparse_direction_.uses_flat_scratch, 0
	.set _ZN9rocsparseL24bsrsm_lower_large_kernelILj1024ELj16ELb0EfEEviiPKiS2_PKT2_iPS3_iPiS2_S7_21rocsparse_index_base_20rocsparse_diag_type_20rocsparse_direction_.has_dyn_sized_stack, 0
	.set _ZN9rocsparseL24bsrsm_lower_large_kernelILj1024ELj16ELb0EfEEviiPKiS2_PKT2_iPS3_iPiS2_S7_21rocsparse_index_base_20rocsparse_diag_type_20rocsparse_direction_.has_recursion, 0
	.set _ZN9rocsparseL24bsrsm_lower_large_kernelILj1024ELj16ELb0EfEEviiPKiS2_PKT2_iPS3_iPiS2_S7_21rocsparse_index_base_20rocsparse_diag_type_20rocsparse_direction_.has_indirect_call, 0
	.section	.AMDGPU.csdata,"",@progbits
; Kernel info:
; codeLenInByte = 1616
; TotalNumSgprs: 38
; NumVgprs: 15
; ScratchSize: 0
; MemoryBound: 0
; FloatMode: 240
; IeeeMode: 1
; LDSByteSize: 0 bytes/workgroup (compile time only)
; SGPRBlocks: 0
; VGPRBlocks: 0
; NumSGPRsForWavesPerEU: 38
; NumVGPRsForWavesPerEU: 15
; NamedBarCnt: 0
; Occupancy: 16
; WaveLimiterHint : 1
; COMPUTE_PGM_RSRC2:SCRATCH_EN: 0
; COMPUTE_PGM_RSRC2:USER_SGPR: 2
; COMPUTE_PGM_RSRC2:TRAP_HANDLER: 0
; COMPUTE_PGM_RSRC2:TGID_X_EN: 1
; COMPUTE_PGM_RSRC2:TGID_Y_EN: 0
; COMPUTE_PGM_RSRC2:TGID_Z_EN: 0
; COMPUTE_PGM_RSRC2:TIDIG_COMP_CNT: 0
	.section	.text._ZN9rocsparseL16bsrsm_copy_scaleILj1024EdEEviiNS_24const_host_device_scalarIT0_EEPKS2_lPS2_lb,"axG",@progbits,_ZN9rocsparseL16bsrsm_copy_scaleILj1024EdEEviiNS_24const_host_device_scalarIT0_EEPKS2_lPS2_lb,comdat
	.globl	_ZN9rocsparseL16bsrsm_copy_scaleILj1024EdEEviiNS_24const_host_device_scalarIT0_EEPKS2_lPS2_lb ; -- Begin function _ZN9rocsparseL16bsrsm_copy_scaleILj1024EdEEviiNS_24const_host_device_scalarIT0_EEPKS2_lPS2_lb
	.p2align	8
	.type	_ZN9rocsparseL16bsrsm_copy_scaleILj1024EdEEviiNS_24const_host_device_scalarIT0_EEPKS2_lPS2_lb,@function
_ZN9rocsparseL16bsrsm_copy_scaleILj1024EdEEviiNS_24const_host_device_scalarIT0_EEPKS2_lPS2_lb: ; @_ZN9rocsparseL16bsrsm_copy_scaleILj1024EdEEviiNS_24const_host_device_scalarIT0_EEPKS2_lPS2_lb
; %bb.0:
	s_clause 0x1
	s_load_b32 s2, s[0:1], 0x30
	s_load_b256 s[4:11], s[0:1], 0x8
	s_wait_kmcnt 0x0
	s_bitcmp1_b32 s2, 0
	v_mov_b64_e32 v[2:3], s[4:5]
	s_cselect_b32 s2, -1, 0
	s_delay_alu instid0(SALU_CYCLE_1)
	s_and_b32 vcc_lo, exec_lo, s2
	s_cbranch_vccnz .LBB16_2
; %bb.1:
	v_mov_b32_e32 v1, 0
	flat_load_b64 v[2:3], v1, s[4:5]
.LBB16_2:
	s_wait_xcnt 0x0
	s_clause 0x1
	s_load_b32 s4, s[0:1], 0x44
	s_load_b64 s[2:3], s[0:1], 0x0
	s_bfe_u32 s5, ttmp6, 0x4000c
	s_and_b32 s12, ttmp6, 15
	s_add_co_i32 s5, s5, 1
	s_getreg_b32 s13, hwreg(HW_REG_IB_STS2, 6, 4)
	s_mul_i32 s5, ttmp9, s5
	s_delay_alu instid0(SALU_CYCLE_1)
	s_add_co_i32 s12, s12, s5
	s_wait_kmcnt 0x0
	s_and_b32 s4, s4, 0xffff
	s_cmp_eq_u32 s13, 0
	s_cselect_b32 s5, ttmp9, s12
	s_cmp_gt_i32 s3, 0
	v_mad_u32 v0, s5, s4, v0
	s_delay_alu instid0(VALU_DEP_1) | instskip(SKIP_1) | instid1(SALU_CYCLE_1)
	v_cmp_gt_i32_e32 vcc_lo, s2, v0
	s_cselect_b32 s2, -1, 0
	s_and_b32 s2, s2, vcc_lo
	s_delay_alu instid0(SALU_CYCLE_1)
	s_and_saveexec_b32 s4, s2
	s_cbranch_execz .LBB16_5
; %bb.3:
	s_load_b64 s[0:1], s[0:1], 0x28
	v_ashrrev_i32_e32 v1, 31, v0
	s_delay_alu instid0(VALU_DEP_1) | instskip(SKIP_2) | instid1(VALU_DEP_2)
	v_mul_u64_e32 v[4:5], s[8:9], v[0:1]
	s_wait_kmcnt 0x0
	v_mul_u64_e32 v[6:7], s[0:1], v[0:1]
	v_lshl_add_u64 v[0:1], v[4:5], 3, s[6:7]
	s_delay_alu instid0(VALU_DEP_2)
	v_lshl_add_u64 v[4:5], v[6:7], 3, s[10:11]
.LBB16_4:                               ; =>This Inner Loop Header: Depth=1
	global_load_b64 v[6:7], v[0:1], off
	s_wait_xcnt 0x0
	v_add_nc_u64_e32 v[0:1], 8, v[0:1]
	s_add_co_i32 s3, s3, -1
	s_delay_alu instid0(SALU_CYCLE_1)
	s_cmp_lg_u32 s3, 0
	s_wait_loadcnt_dscnt 0x0
	v_mul_f64_e32 v[6:7], v[2:3], v[6:7]
	global_store_b64 v[4:5], v[6:7], off
	s_wait_xcnt 0x0
	v_add_nc_u64_e32 v[4:5], 8, v[4:5]
	s_cbranch_scc1 .LBB16_4
.LBB16_5:
	s_endpgm
	.section	.rodata,"a",@progbits
	.p2align	6, 0x0
	.amdhsa_kernel _ZN9rocsparseL16bsrsm_copy_scaleILj1024EdEEviiNS_24const_host_device_scalarIT0_EEPKS2_lPS2_lb
		.amdhsa_group_segment_fixed_size 0
		.amdhsa_private_segment_fixed_size 0
		.amdhsa_kernarg_size 312
		.amdhsa_user_sgpr_count 2
		.amdhsa_user_sgpr_dispatch_ptr 0
		.amdhsa_user_sgpr_queue_ptr 0
		.amdhsa_user_sgpr_kernarg_segment_ptr 1
		.amdhsa_user_sgpr_dispatch_id 0
		.amdhsa_user_sgpr_kernarg_preload_length 0
		.amdhsa_user_sgpr_kernarg_preload_offset 0
		.amdhsa_user_sgpr_private_segment_size 0
		.amdhsa_wavefront_size32 1
		.amdhsa_uses_dynamic_stack 0
		.amdhsa_enable_private_segment 0
		.amdhsa_system_sgpr_workgroup_id_x 1
		.amdhsa_system_sgpr_workgroup_id_y 0
		.amdhsa_system_sgpr_workgroup_id_z 0
		.amdhsa_system_sgpr_workgroup_info 0
		.amdhsa_system_vgpr_workitem_id 0
		.amdhsa_next_free_vgpr 8
		.amdhsa_next_free_sgpr 14
		.amdhsa_named_barrier_count 0
		.amdhsa_reserve_vcc 1
		.amdhsa_float_round_mode_32 0
		.amdhsa_float_round_mode_16_64 0
		.amdhsa_float_denorm_mode_32 3
		.amdhsa_float_denorm_mode_16_64 3
		.amdhsa_fp16_overflow 0
		.amdhsa_memory_ordered 1
		.amdhsa_forward_progress 1
		.amdhsa_inst_pref_size 3
		.amdhsa_round_robin_scheduling 0
		.amdhsa_exception_fp_ieee_invalid_op 0
		.amdhsa_exception_fp_denorm_src 0
		.amdhsa_exception_fp_ieee_div_zero 0
		.amdhsa_exception_fp_ieee_overflow 0
		.amdhsa_exception_fp_ieee_underflow 0
		.amdhsa_exception_fp_ieee_inexact 0
		.amdhsa_exception_int_div_zero 0
	.end_amdhsa_kernel
	.section	.text._ZN9rocsparseL16bsrsm_copy_scaleILj1024EdEEviiNS_24const_host_device_scalarIT0_EEPKS2_lPS2_lb,"axG",@progbits,_ZN9rocsparseL16bsrsm_copy_scaleILj1024EdEEviiNS_24const_host_device_scalarIT0_EEPKS2_lPS2_lb,comdat
.Lfunc_end16:
	.size	_ZN9rocsparseL16bsrsm_copy_scaleILj1024EdEEviiNS_24const_host_device_scalarIT0_EEPKS2_lPS2_lb, .Lfunc_end16-_ZN9rocsparseL16bsrsm_copy_scaleILj1024EdEEviiNS_24const_host_device_scalarIT0_EEPKS2_lPS2_lb
                                        ; -- End function
	.set _ZN9rocsparseL16bsrsm_copy_scaleILj1024EdEEviiNS_24const_host_device_scalarIT0_EEPKS2_lPS2_lb.num_vgpr, 8
	.set _ZN9rocsparseL16bsrsm_copy_scaleILj1024EdEEviiNS_24const_host_device_scalarIT0_EEPKS2_lPS2_lb.num_agpr, 0
	.set _ZN9rocsparseL16bsrsm_copy_scaleILj1024EdEEviiNS_24const_host_device_scalarIT0_EEPKS2_lPS2_lb.numbered_sgpr, 14
	.set _ZN9rocsparseL16bsrsm_copy_scaleILj1024EdEEviiNS_24const_host_device_scalarIT0_EEPKS2_lPS2_lb.num_named_barrier, 0
	.set _ZN9rocsparseL16bsrsm_copy_scaleILj1024EdEEviiNS_24const_host_device_scalarIT0_EEPKS2_lPS2_lb.private_seg_size, 0
	.set _ZN9rocsparseL16bsrsm_copy_scaleILj1024EdEEviiNS_24const_host_device_scalarIT0_EEPKS2_lPS2_lb.uses_vcc, 1
	.set _ZN9rocsparseL16bsrsm_copy_scaleILj1024EdEEviiNS_24const_host_device_scalarIT0_EEPKS2_lPS2_lb.uses_flat_scratch, 0
	.set _ZN9rocsparseL16bsrsm_copy_scaleILj1024EdEEviiNS_24const_host_device_scalarIT0_EEPKS2_lPS2_lb.has_dyn_sized_stack, 0
	.set _ZN9rocsparseL16bsrsm_copy_scaleILj1024EdEEviiNS_24const_host_device_scalarIT0_EEPKS2_lPS2_lb.has_recursion, 0
	.set _ZN9rocsparseL16bsrsm_copy_scaleILj1024EdEEviiNS_24const_host_device_scalarIT0_EEPKS2_lPS2_lb.has_indirect_call, 0
	.section	.AMDGPU.csdata,"",@progbits
; Kernel info:
; codeLenInByte = 296
; TotalNumSgprs: 16
; NumVgprs: 8
; ScratchSize: 0
; MemoryBound: 0
; FloatMode: 240
; IeeeMode: 1
; LDSByteSize: 0 bytes/workgroup (compile time only)
; SGPRBlocks: 0
; VGPRBlocks: 0
; NumSGPRsForWavesPerEU: 16
; NumVGPRsForWavesPerEU: 8
; NamedBarCnt: 0
; Occupancy: 16
; WaveLimiterHint : 0
; COMPUTE_PGM_RSRC2:SCRATCH_EN: 0
; COMPUTE_PGM_RSRC2:USER_SGPR: 2
; COMPUTE_PGM_RSRC2:TRAP_HANDLER: 0
; COMPUTE_PGM_RSRC2:TGID_X_EN: 1
; COMPUTE_PGM_RSRC2:TGID_Y_EN: 0
; COMPUTE_PGM_RSRC2:TGID_Z_EN: 0
; COMPUTE_PGM_RSRC2:TIDIG_COMP_CNT: 0
	.section	.text._ZN9rocsparseL10bsr_gatherILj4ELj64ELj2EidEEv20rocsparse_direction_T2_PKS2_PKT3_PS5_S2_,"axG",@progbits,_ZN9rocsparseL10bsr_gatherILj4ELj64ELj2EidEEv20rocsparse_direction_T2_PKS2_PKT3_PS5_S2_,comdat
	.globl	_ZN9rocsparseL10bsr_gatherILj4ELj64ELj2EidEEv20rocsparse_direction_T2_PKS2_PKT3_PS5_S2_ ; -- Begin function _ZN9rocsparseL10bsr_gatherILj4ELj64ELj2EidEEv20rocsparse_direction_T2_PKS2_PKT3_PS5_S2_
	.p2align	8
	.type	_ZN9rocsparseL10bsr_gatherILj4ELj64ELj2EidEEv20rocsparse_direction_T2_PKS2_PKT3_PS5_S2_,@function
_ZN9rocsparseL10bsr_gatherILj4ELj64ELj2EidEEv20rocsparse_direction_T2_PKS2_PKT3_PS5_S2_: ; @_ZN9rocsparseL10bsr_gatherILj4ELj64ELj2EidEEv20rocsparse_direction_T2_PKS2_PKT3_PS5_S2_
; %bb.0:
	s_load_b64 s[8:9], s[0:1], 0x0
	s_bfe_u32 s2, ttmp6, 0x4000c
	s_and_b32 s3, ttmp6, 15
	s_add_co_i32 s2, s2, 1
	v_bfe_u32 v1, v0, 10, 10
	s_mul_i32 s2, ttmp9, s2
	s_delay_alu instid0(SALU_CYCLE_1) | instskip(SKIP_1) | instid1(SALU_CYCLE_1)
	s_add_co_i32 s3, s3, s2
	s_getreg_b32 s2, hwreg(HW_REG_IB_STS2, 6, 4)
	s_cmp_eq_u32 s2, 0
	s_cselect_b32 s2, ttmp9, s3
	s_delay_alu instid0(SALU_CYCLE_1) | instskip(SKIP_2) | instid1(VALU_DEP_1)
	v_lshl_add_u32 v1, s2, 6, v1
	s_mov_b32 s2, exec_lo
	s_wait_kmcnt 0x0
	v_cmpx_gt_i32_e64 s9, v1
	s_cbranch_execz .LBB17_15
; %bb.1:
	s_load_b32 s9, s[0:1], 0x20
	v_and_b32_e32 v2, 1, v0
	s_wait_kmcnt 0x0
	s_delay_alu instid0(VALU_DEP_1)
	v_cmp_gt_i32_e32 vcc_lo, s9, v2
	s_and_b32 exec_lo, exec_lo, vcc_lo
	s_cbranch_execz .LBB17_15
; %bb.2:
	s_clause 0x1
	s_load_b128 s[4:7], s[0:1], 0x8
	s_load_b64 s[2:3], s[0:1], 0x18
	v_mul_lo_u32 v3, s9, v1
	v_and_b32_e32 v0, 0x3ff, v0
	s_cmp_lg_u32 s8, 0
	s_wait_xcnt 0x0
	s_mov_b32 s1, 0
	s_delay_alu instid0(VALU_DEP_1) | instskip(NEXT) | instid1(VALU_DEP_1)
	v_lshrrev_b32_e32 v5, 1, v0
	v_cmp_gt_u32_e64 s0, s9, v5
	s_wait_kmcnt 0x0
	global_load_b32 v4, v1, s[4:5] scale_offset
	s_wait_xcnt 0x0
	s_cselect_b32 s4, -1, 0
	s_lshl_b32 s5, s9, 1
	s_wait_loadcnt 0x0
	v_mul_lo_u32 v4, v4, s9
	s_delay_alu instid0(VALU_DEP_1) | instskip(NEXT) | instid1(VALU_DEP_1)
	v_dual_add_nc_u32 v1, v3, v2 :: v_dual_add_nc_u32 v7, v4, v2
	v_mul_lo_u32 v6, s9, v1
	s_delay_alu instid0(VALU_DEP_2)
	v_mul_lo_u32 v7, s9, v7
	s_branch .LBB17_4
.LBB17_3:                               ;   in Loop: Header=BB17_4 Depth=1
	s_or_b32 exec_lo, exec_lo, s8
	s_delay_alu instid0(VALU_DEP_1) | instskip(NEXT) | instid1(VALU_DEP_3)
	v_dual_add_nc_u32 v2, 2, v2 :: v_dual_add_nc_u32 v7, s5, v7
	v_add_nc_u32_e32 v6, s5, v6
	s_delay_alu instid0(VALU_DEP_2) | instskip(SKIP_1) | instid1(SALU_CYCLE_1)
	v_cmp_le_i32_e32 vcc_lo, s9, v2
	s_or_b32 s1, vcc_lo, s1
	s_and_not1_b32 exec_lo, exec_lo, s1
	s_cbranch_execz .LBB17_15
.LBB17_4:                               ; =>This Loop Header: Depth=1
                                        ;     Child Loop BB17_7 Depth 2
	s_and_saveexec_b32 s8, s0
	s_cbranch_execz .LBB17_3
; %bb.5:                                ;   in Loop: Header=BB17_4 Depth=1
	v_mov_b32_e32 v8, v5
	s_mov_b32 s10, 0
	s_branch .LBB17_7
.LBB17_6:                               ;   in Loop: Header=BB17_7 Depth=2
	v_add_nc_u32_e32 v8, 2, v8
	s_wait_loadcnt 0x0
	global_store_b64 v9, v[0:1], s[2:3] scale_offset
	v_cmp_le_i32_e32 vcc_lo, s9, v8
	s_or_b32 s10, vcc_lo, s10
	s_wait_xcnt 0x0
	s_and_not1_b32 exec_lo, exec_lo, s10
	s_cbranch_execz .LBB17_3
.LBB17_7:                               ;   Parent Loop BB17_4 Depth=1
                                        ; =>  This Inner Loop Header: Depth=2
	s_and_b32 vcc_lo, exec_lo, s4
	s_cbranch_vccz .LBB17_12
; %bb.8:                                ;   in Loop: Header=BB17_7 Depth=2
	s_delay_alu instid0(VALU_DEP_2)
	v_add_nc_u32_e32 v0, v7, v8
	s_cbranch_execnz .LBB17_10
.LBB17_9:                               ;   in Loop: Header=BB17_7 Depth=2
	v_add_nc_u32_e32 v0, v8, v4
	s_delay_alu instid0(VALU_DEP_1)
	v_mad_u32 v0, v0, s9, v2
.LBB17_10:                              ;   in Loop: Header=BB17_7 Depth=2
	global_load_b64 v[0:1], v0, s[6:7] scale_offset
	s_and_b32 vcc_lo, exec_lo, s4
	s_cbranch_vccz .LBB17_13
; %bb.11:                               ;   in Loop: Header=BB17_7 Depth=2
	v_add_nc_u32_e32 v9, v8, v3
	s_delay_alu instid0(VALU_DEP_1)
	v_mad_u32 v9, v9, s9, v2
	s_cbranch_execnz .LBB17_6
	s_branch .LBB17_14
.LBB17_12:                              ;   in Loop: Header=BB17_7 Depth=2
                                        ; implicit-def: $vgpr0
	s_branch .LBB17_9
.LBB17_13:                              ;   in Loop: Header=BB17_7 Depth=2
                                        ; implicit-def: $vgpr9
.LBB17_14:                              ;   in Loop: Header=BB17_7 Depth=2
	v_add_nc_u32_e32 v9, v6, v8
	s_branch .LBB17_6
.LBB17_15:
	s_endpgm
	.section	.rodata,"a",@progbits
	.p2align	6, 0x0
	.amdhsa_kernel _ZN9rocsparseL10bsr_gatherILj4ELj64ELj2EidEEv20rocsparse_direction_T2_PKS2_PKT3_PS5_S2_
		.amdhsa_group_segment_fixed_size 0
		.amdhsa_private_segment_fixed_size 0
		.amdhsa_kernarg_size 36
		.amdhsa_user_sgpr_count 2
		.amdhsa_user_sgpr_dispatch_ptr 0
		.amdhsa_user_sgpr_queue_ptr 0
		.amdhsa_user_sgpr_kernarg_segment_ptr 1
		.amdhsa_user_sgpr_dispatch_id 0
		.amdhsa_user_sgpr_kernarg_preload_length 0
		.amdhsa_user_sgpr_kernarg_preload_offset 0
		.amdhsa_user_sgpr_private_segment_size 0
		.amdhsa_wavefront_size32 1
		.amdhsa_uses_dynamic_stack 0
		.amdhsa_enable_private_segment 0
		.amdhsa_system_sgpr_workgroup_id_x 1
		.amdhsa_system_sgpr_workgroup_id_y 0
		.amdhsa_system_sgpr_workgroup_id_z 0
		.amdhsa_system_sgpr_workgroup_info 0
		.amdhsa_system_vgpr_workitem_id 1
		.amdhsa_next_free_vgpr 10
		.amdhsa_next_free_sgpr 11
		.amdhsa_named_barrier_count 0
		.amdhsa_reserve_vcc 1
		.amdhsa_float_round_mode_32 0
		.amdhsa_float_round_mode_16_64 0
		.amdhsa_float_denorm_mode_32 3
		.amdhsa_float_denorm_mode_16_64 3
		.amdhsa_fp16_overflow 0
		.amdhsa_memory_ordered 1
		.amdhsa_forward_progress 1
		.amdhsa_inst_pref_size 4
		.amdhsa_round_robin_scheduling 0
		.amdhsa_exception_fp_ieee_invalid_op 0
		.amdhsa_exception_fp_denorm_src 0
		.amdhsa_exception_fp_ieee_div_zero 0
		.amdhsa_exception_fp_ieee_overflow 0
		.amdhsa_exception_fp_ieee_underflow 0
		.amdhsa_exception_fp_ieee_inexact 0
		.amdhsa_exception_int_div_zero 0
	.end_amdhsa_kernel
	.section	.text._ZN9rocsparseL10bsr_gatherILj4ELj64ELj2EidEEv20rocsparse_direction_T2_PKS2_PKT3_PS5_S2_,"axG",@progbits,_ZN9rocsparseL10bsr_gatherILj4ELj64ELj2EidEEv20rocsparse_direction_T2_PKS2_PKT3_PS5_S2_,comdat
.Lfunc_end17:
	.size	_ZN9rocsparseL10bsr_gatherILj4ELj64ELj2EidEEv20rocsparse_direction_T2_PKS2_PKT3_PS5_S2_, .Lfunc_end17-_ZN9rocsparseL10bsr_gatherILj4ELj64ELj2EidEEv20rocsparse_direction_T2_PKS2_PKT3_PS5_S2_
                                        ; -- End function
	.set _ZN9rocsparseL10bsr_gatherILj4ELj64ELj2EidEEv20rocsparse_direction_T2_PKS2_PKT3_PS5_S2_.num_vgpr, 10
	.set _ZN9rocsparseL10bsr_gatherILj4ELj64ELj2EidEEv20rocsparse_direction_T2_PKS2_PKT3_PS5_S2_.num_agpr, 0
	.set _ZN9rocsparseL10bsr_gatherILj4ELj64ELj2EidEEv20rocsparse_direction_T2_PKS2_PKT3_PS5_S2_.numbered_sgpr, 11
	.set _ZN9rocsparseL10bsr_gatherILj4ELj64ELj2EidEEv20rocsparse_direction_T2_PKS2_PKT3_PS5_S2_.num_named_barrier, 0
	.set _ZN9rocsparseL10bsr_gatherILj4ELj64ELj2EidEEv20rocsparse_direction_T2_PKS2_PKT3_PS5_S2_.private_seg_size, 0
	.set _ZN9rocsparseL10bsr_gatherILj4ELj64ELj2EidEEv20rocsparse_direction_T2_PKS2_PKT3_PS5_S2_.uses_vcc, 1
	.set _ZN9rocsparseL10bsr_gatherILj4ELj64ELj2EidEEv20rocsparse_direction_T2_PKS2_PKT3_PS5_S2_.uses_flat_scratch, 0
	.set _ZN9rocsparseL10bsr_gatherILj4ELj64ELj2EidEEv20rocsparse_direction_T2_PKS2_PKT3_PS5_S2_.has_dyn_sized_stack, 0
	.set _ZN9rocsparseL10bsr_gatherILj4ELj64ELj2EidEEv20rocsparse_direction_T2_PKS2_PKT3_PS5_S2_.has_recursion, 0
	.set _ZN9rocsparseL10bsr_gatherILj4ELj64ELj2EidEEv20rocsparse_direction_T2_PKS2_PKT3_PS5_S2_.has_indirect_call, 0
	.section	.AMDGPU.csdata,"",@progbits
; Kernel info:
; codeLenInByte = 464
; TotalNumSgprs: 13
; NumVgprs: 10
; ScratchSize: 0
; MemoryBound: 0
; FloatMode: 240
; IeeeMode: 1
; LDSByteSize: 0 bytes/workgroup (compile time only)
; SGPRBlocks: 0
; VGPRBlocks: 0
; NumSGPRsForWavesPerEU: 13
; NumVGPRsForWavesPerEU: 10
; NamedBarCnt: 0
; Occupancy: 16
; WaveLimiterHint : 0
; COMPUTE_PGM_RSRC2:SCRATCH_EN: 0
; COMPUTE_PGM_RSRC2:USER_SGPR: 2
; COMPUTE_PGM_RSRC2:TRAP_HANDLER: 0
; COMPUTE_PGM_RSRC2:TGID_X_EN: 1
; COMPUTE_PGM_RSRC2:TGID_Y_EN: 0
; COMPUTE_PGM_RSRC2:TGID_Z_EN: 0
; COMPUTE_PGM_RSRC2:TIDIG_COMP_CNT: 1
	.section	.text._ZN9rocsparseL10bsr_gatherILj16ELj16ELj4EidEEv20rocsparse_direction_T2_PKS2_PKT3_PS5_S2_,"axG",@progbits,_ZN9rocsparseL10bsr_gatherILj16ELj16ELj4EidEEv20rocsparse_direction_T2_PKS2_PKT3_PS5_S2_,comdat
	.globl	_ZN9rocsparseL10bsr_gatherILj16ELj16ELj4EidEEv20rocsparse_direction_T2_PKS2_PKT3_PS5_S2_ ; -- Begin function _ZN9rocsparseL10bsr_gatherILj16ELj16ELj4EidEEv20rocsparse_direction_T2_PKS2_PKT3_PS5_S2_
	.p2align	8
	.type	_ZN9rocsparseL10bsr_gatherILj16ELj16ELj4EidEEv20rocsparse_direction_T2_PKS2_PKT3_PS5_S2_,@function
_ZN9rocsparseL10bsr_gatherILj16ELj16ELj4EidEEv20rocsparse_direction_T2_PKS2_PKT3_PS5_S2_: ; @_ZN9rocsparseL10bsr_gatherILj16ELj16ELj4EidEEv20rocsparse_direction_T2_PKS2_PKT3_PS5_S2_
; %bb.0:
	s_load_b64 s[8:9], s[0:1], 0x0
	s_bfe_u32 s2, ttmp6, 0x4000c
	s_and_b32 s3, ttmp6, 15
	s_add_co_i32 s2, s2, 1
	v_bfe_u32 v1, v0, 10, 10
	s_mul_i32 s2, ttmp9, s2
	s_delay_alu instid0(SALU_CYCLE_1) | instskip(SKIP_1) | instid1(SALU_CYCLE_1)
	s_add_co_i32 s3, s3, s2
	s_getreg_b32 s2, hwreg(HW_REG_IB_STS2, 6, 4)
	s_cmp_eq_u32 s2, 0
	s_cselect_b32 s2, ttmp9, s3
	s_delay_alu instid0(SALU_CYCLE_1) | instskip(SKIP_2) | instid1(VALU_DEP_1)
	v_lshl_add_u32 v1, s2, 4, v1
	s_mov_b32 s2, exec_lo
	s_wait_kmcnt 0x0
	v_cmpx_gt_i32_e64 s9, v1
	s_cbranch_execz .LBB18_15
; %bb.1:
	s_load_b32 s9, s[0:1], 0x20
	v_and_b32_e32 v2, 3, v0
	s_wait_kmcnt 0x0
	s_delay_alu instid0(VALU_DEP_1)
	v_cmp_gt_i32_e32 vcc_lo, s9, v2
	s_and_b32 exec_lo, exec_lo, vcc_lo
	s_cbranch_execz .LBB18_15
; %bb.2:
	s_clause 0x1
	s_load_b128 s[4:7], s[0:1], 0x8
	s_load_b64 s[2:3], s[0:1], 0x18
	v_mul_lo_u32 v3, s9, v1
	v_and_b32_e32 v0, 0x3ff, v0
	s_cmp_lg_u32 s8, 0
	s_wait_xcnt 0x0
	s_mov_b32 s1, 0
	s_delay_alu instid0(VALU_DEP_1) | instskip(NEXT) | instid1(VALU_DEP_1)
	v_lshrrev_b32_e32 v5, 2, v0
	v_cmp_gt_u32_e64 s0, s9, v5
	s_wait_kmcnt 0x0
	global_load_b32 v4, v1, s[4:5] scale_offset
	s_wait_xcnt 0x0
	s_cselect_b32 s4, -1, 0
	s_lshl_b32 s5, s9, 2
	s_wait_loadcnt 0x0
	v_mul_lo_u32 v4, v4, s9
	s_delay_alu instid0(VALU_DEP_1) | instskip(NEXT) | instid1(VALU_DEP_1)
	v_dual_add_nc_u32 v1, v3, v2 :: v_dual_add_nc_u32 v7, v4, v2
	v_mul_lo_u32 v6, s9, v1
	s_delay_alu instid0(VALU_DEP_2)
	v_mul_lo_u32 v7, s9, v7
	s_branch .LBB18_4
.LBB18_3:                               ;   in Loop: Header=BB18_4 Depth=1
	s_or_b32 exec_lo, exec_lo, s8
	s_delay_alu instid0(VALU_DEP_1) | instskip(NEXT) | instid1(VALU_DEP_3)
	v_dual_add_nc_u32 v2, 4, v2 :: v_dual_add_nc_u32 v7, s5, v7
	v_add_nc_u32_e32 v6, s5, v6
	s_delay_alu instid0(VALU_DEP_2) | instskip(SKIP_1) | instid1(SALU_CYCLE_1)
	v_cmp_le_i32_e32 vcc_lo, s9, v2
	s_or_b32 s1, vcc_lo, s1
	s_and_not1_b32 exec_lo, exec_lo, s1
	s_cbranch_execz .LBB18_15
.LBB18_4:                               ; =>This Loop Header: Depth=1
                                        ;     Child Loop BB18_7 Depth 2
	s_and_saveexec_b32 s8, s0
	s_cbranch_execz .LBB18_3
; %bb.5:                                ;   in Loop: Header=BB18_4 Depth=1
	v_mov_b32_e32 v8, v5
	s_mov_b32 s10, 0
	s_branch .LBB18_7
.LBB18_6:                               ;   in Loop: Header=BB18_7 Depth=2
	v_add_nc_u32_e32 v8, 4, v8
	s_wait_loadcnt 0x0
	global_store_b64 v9, v[0:1], s[2:3] scale_offset
	v_cmp_le_i32_e32 vcc_lo, s9, v8
	s_or_b32 s10, vcc_lo, s10
	s_wait_xcnt 0x0
	s_and_not1_b32 exec_lo, exec_lo, s10
	s_cbranch_execz .LBB18_3
.LBB18_7:                               ;   Parent Loop BB18_4 Depth=1
                                        ; =>  This Inner Loop Header: Depth=2
	s_and_b32 vcc_lo, exec_lo, s4
	s_cbranch_vccz .LBB18_12
; %bb.8:                                ;   in Loop: Header=BB18_7 Depth=2
	s_delay_alu instid0(VALU_DEP_2)
	v_add_nc_u32_e32 v0, v7, v8
	s_cbranch_execnz .LBB18_10
.LBB18_9:                               ;   in Loop: Header=BB18_7 Depth=2
	v_add_nc_u32_e32 v0, v8, v4
	s_delay_alu instid0(VALU_DEP_1)
	v_mad_u32 v0, v0, s9, v2
.LBB18_10:                              ;   in Loop: Header=BB18_7 Depth=2
	global_load_b64 v[0:1], v0, s[6:7] scale_offset
	s_and_b32 vcc_lo, exec_lo, s4
	s_cbranch_vccz .LBB18_13
; %bb.11:                               ;   in Loop: Header=BB18_7 Depth=2
	v_add_nc_u32_e32 v9, v8, v3
	s_delay_alu instid0(VALU_DEP_1)
	v_mad_u32 v9, v9, s9, v2
	s_cbranch_execnz .LBB18_6
	s_branch .LBB18_14
.LBB18_12:                              ;   in Loop: Header=BB18_7 Depth=2
                                        ; implicit-def: $vgpr0
	s_branch .LBB18_9
.LBB18_13:                              ;   in Loop: Header=BB18_7 Depth=2
                                        ; implicit-def: $vgpr9
.LBB18_14:                              ;   in Loop: Header=BB18_7 Depth=2
	v_add_nc_u32_e32 v9, v6, v8
	s_branch .LBB18_6
.LBB18_15:
	s_endpgm
	.section	.rodata,"a",@progbits
	.p2align	6, 0x0
	.amdhsa_kernel _ZN9rocsparseL10bsr_gatherILj16ELj16ELj4EidEEv20rocsparse_direction_T2_PKS2_PKT3_PS5_S2_
		.amdhsa_group_segment_fixed_size 0
		.amdhsa_private_segment_fixed_size 0
		.amdhsa_kernarg_size 36
		.amdhsa_user_sgpr_count 2
		.amdhsa_user_sgpr_dispatch_ptr 0
		.amdhsa_user_sgpr_queue_ptr 0
		.amdhsa_user_sgpr_kernarg_segment_ptr 1
		.amdhsa_user_sgpr_dispatch_id 0
		.amdhsa_user_sgpr_kernarg_preload_length 0
		.amdhsa_user_sgpr_kernarg_preload_offset 0
		.amdhsa_user_sgpr_private_segment_size 0
		.amdhsa_wavefront_size32 1
		.amdhsa_uses_dynamic_stack 0
		.amdhsa_enable_private_segment 0
		.amdhsa_system_sgpr_workgroup_id_x 1
		.amdhsa_system_sgpr_workgroup_id_y 0
		.amdhsa_system_sgpr_workgroup_id_z 0
		.amdhsa_system_sgpr_workgroup_info 0
		.amdhsa_system_vgpr_workitem_id 1
		.amdhsa_next_free_vgpr 10
		.amdhsa_next_free_sgpr 11
		.amdhsa_named_barrier_count 0
		.amdhsa_reserve_vcc 1
		.amdhsa_float_round_mode_32 0
		.amdhsa_float_round_mode_16_64 0
		.amdhsa_float_denorm_mode_32 3
		.amdhsa_float_denorm_mode_16_64 3
		.amdhsa_fp16_overflow 0
		.amdhsa_memory_ordered 1
		.amdhsa_forward_progress 1
		.amdhsa_inst_pref_size 4
		.amdhsa_round_robin_scheduling 0
		.amdhsa_exception_fp_ieee_invalid_op 0
		.amdhsa_exception_fp_denorm_src 0
		.amdhsa_exception_fp_ieee_div_zero 0
		.amdhsa_exception_fp_ieee_overflow 0
		.amdhsa_exception_fp_ieee_underflow 0
		.amdhsa_exception_fp_ieee_inexact 0
		.amdhsa_exception_int_div_zero 0
	.end_amdhsa_kernel
	.section	.text._ZN9rocsparseL10bsr_gatherILj16ELj16ELj4EidEEv20rocsparse_direction_T2_PKS2_PKT3_PS5_S2_,"axG",@progbits,_ZN9rocsparseL10bsr_gatherILj16ELj16ELj4EidEEv20rocsparse_direction_T2_PKS2_PKT3_PS5_S2_,comdat
.Lfunc_end18:
	.size	_ZN9rocsparseL10bsr_gatherILj16ELj16ELj4EidEEv20rocsparse_direction_T2_PKS2_PKT3_PS5_S2_, .Lfunc_end18-_ZN9rocsparseL10bsr_gatherILj16ELj16ELj4EidEEv20rocsparse_direction_T2_PKS2_PKT3_PS5_S2_
                                        ; -- End function
	.set _ZN9rocsparseL10bsr_gatherILj16ELj16ELj4EidEEv20rocsparse_direction_T2_PKS2_PKT3_PS5_S2_.num_vgpr, 10
	.set _ZN9rocsparseL10bsr_gatherILj16ELj16ELj4EidEEv20rocsparse_direction_T2_PKS2_PKT3_PS5_S2_.num_agpr, 0
	.set _ZN9rocsparseL10bsr_gatherILj16ELj16ELj4EidEEv20rocsparse_direction_T2_PKS2_PKT3_PS5_S2_.numbered_sgpr, 11
	.set _ZN9rocsparseL10bsr_gatherILj16ELj16ELj4EidEEv20rocsparse_direction_T2_PKS2_PKT3_PS5_S2_.num_named_barrier, 0
	.set _ZN9rocsparseL10bsr_gatherILj16ELj16ELj4EidEEv20rocsparse_direction_T2_PKS2_PKT3_PS5_S2_.private_seg_size, 0
	.set _ZN9rocsparseL10bsr_gatherILj16ELj16ELj4EidEEv20rocsparse_direction_T2_PKS2_PKT3_PS5_S2_.uses_vcc, 1
	.set _ZN9rocsparseL10bsr_gatherILj16ELj16ELj4EidEEv20rocsparse_direction_T2_PKS2_PKT3_PS5_S2_.uses_flat_scratch, 0
	.set _ZN9rocsparseL10bsr_gatherILj16ELj16ELj4EidEEv20rocsparse_direction_T2_PKS2_PKT3_PS5_S2_.has_dyn_sized_stack, 0
	.set _ZN9rocsparseL10bsr_gatherILj16ELj16ELj4EidEEv20rocsparse_direction_T2_PKS2_PKT3_PS5_S2_.has_recursion, 0
	.set _ZN9rocsparseL10bsr_gatherILj16ELj16ELj4EidEEv20rocsparse_direction_T2_PKS2_PKT3_PS5_S2_.has_indirect_call, 0
	.section	.AMDGPU.csdata,"",@progbits
; Kernel info:
; codeLenInByte = 464
; TotalNumSgprs: 13
; NumVgprs: 10
; ScratchSize: 0
; MemoryBound: 0
; FloatMode: 240
; IeeeMode: 1
; LDSByteSize: 0 bytes/workgroup (compile time only)
; SGPRBlocks: 0
; VGPRBlocks: 0
; NumSGPRsForWavesPerEU: 13
; NumVGPRsForWavesPerEU: 10
; NamedBarCnt: 0
; Occupancy: 16
; WaveLimiterHint : 0
; COMPUTE_PGM_RSRC2:SCRATCH_EN: 0
; COMPUTE_PGM_RSRC2:USER_SGPR: 2
; COMPUTE_PGM_RSRC2:TRAP_HANDLER: 0
; COMPUTE_PGM_RSRC2:TGID_X_EN: 1
; COMPUTE_PGM_RSRC2:TGID_Y_EN: 0
; COMPUTE_PGM_RSRC2:TGID_Z_EN: 0
; COMPUTE_PGM_RSRC2:TIDIG_COMP_CNT: 1
	.section	.text._ZN9rocsparseL10bsr_gatherILj64ELj4ELj8EidEEv20rocsparse_direction_T2_PKS2_PKT3_PS5_S2_,"axG",@progbits,_ZN9rocsparseL10bsr_gatherILj64ELj4ELj8EidEEv20rocsparse_direction_T2_PKS2_PKT3_PS5_S2_,comdat
	.globl	_ZN9rocsparseL10bsr_gatherILj64ELj4ELj8EidEEv20rocsparse_direction_T2_PKS2_PKT3_PS5_S2_ ; -- Begin function _ZN9rocsparseL10bsr_gatherILj64ELj4ELj8EidEEv20rocsparse_direction_T2_PKS2_PKT3_PS5_S2_
	.p2align	8
	.type	_ZN9rocsparseL10bsr_gatherILj64ELj4ELj8EidEEv20rocsparse_direction_T2_PKS2_PKT3_PS5_S2_,@function
_ZN9rocsparseL10bsr_gatherILj64ELj4ELj8EidEEv20rocsparse_direction_T2_PKS2_PKT3_PS5_S2_: ; @_ZN9rocsparseL10bsr_gatherILj64ELj4ELj8EidEEv20rocsparse_direction_T2_PKS2_PKT3_PS5_S2_
; %bb.0:
	s_load_b64 s[8:9], s[0:1], 0x0
	s_bfe_u32 s2, ttmp6, 0x4000c
	s_and_b32 s3, ttmp6, 15
	s_add_co_i32 s2, s2, 1
	v_bfe_u32 v1, v0, 10, 10
	s_mul_i32 s2, ttmp9, s2
	s_delay_alu instid0(SALU_CYCLE_1) | instskip(SKIP_1) | instid1(SALU_CYCLE_1)
	s_add_co_i32 s3, s3, s2
	s_getreg_b32 s2, hwreg(HW_REG_IB_STS2, 6, 4)
	s_cmp_eq_u32 s2, 0
	s_cselect_b32 s2, ttmp9, s3
	s_delay_alu instid0(SALU_CYCLE_1) | instskip(SKIP_2) | instid1(VALU_DEP_1)
	v_lshl_add_u32 v1, s2, 2, v1
	s_mov_b32 s2, exec_lo
	s_wait_kmcnt 0x0
	v_cmpx_gt_i32_e64 s9, v1
	s_cbranch_execz .LBB19_15
; %bb.1:
	s_load_b32 s9, s[0:1], 0x20
	v_and_b32_e32 v2, 7, v0
	s_wait_kmcnt 0x0
	s_delay_alu instid0(VALU_DEP_1)
	v_cmp_gt_i32_e32 vcc_lo, s9, v2
	s_and_b32 exec_lo, exec_lo, vcc_lo
	s_cbranch_execz .LBB19_15
; %bb.2:
	s_clause 0x1
	s_load_b128 s[4:7], s[0:1], 0x8
	s_load_b64 s[2:3], s[0:1], 0x18
	v_mul_lo_u32 v3, s9, v1
	v_and_b32_e32 v0, 0x3ff, v0
	s_cmp_lg_u32 s8, 0
	s_wait_xcnt 0x0
	s_mov_b32 s1, 0
	s_delay_alu instid0(VALU_DEP_1) | instskip(NEXT) | instid1(VALU_DEP_1)
	v_lshrrev_b32_e32 v5, 3, v0
	v_cmp_gt_u32_e64 s0, s9, v5
	s_wait_kmcnt 0x0
	global_load_b32 v4, v1, s[4:5] scale_offset
	s_wait_xcnt 0x0
	s_cselect_b32 s4, -1, 0
	s_lshl_b32 s5, s9, 3
	s_wait_loadcnt 0x0
	v_mul_lo_u32 v4, v4, s9
	s_delay_alu instid0(VALU_DEP_1) | instskip(NEXT) | instid1(VALU_DEP_1)
	v_dual_add_nc_u32 v1, v3, v2 :: v_dual_add_nc_u32 v7, v4, v2
	v_mul_lo_u32 v6, s9, v1
	s_delay_alu instid0(VALU_DEP_2)
	v_mul_lo_u32 v7, s9, v7
	s_branch .LBB19_4
.LBB19_3:                               ;   in Loop: Header=BB19_4 Depth=1
	s_or_b32 exec_lo, exec_lo, s8
	s_delay_alu instid0(VALU_DEP_1) | instskip(NEXT) | instid1(VALU_DEP_3)
	v_dual_add_nc_u32 v2, 8, v2 :: v_dual_add_nc_u32 v7, s5, v7
	v_add_nc_u32_e32 v6, s5, v6
	s_delay_alu instid0(VALU_DEP_2) | instskip(SKIP_1) | instid1(SALU_CYCLE_1)
	v_cmp_le_i32_e32 vcc_lo, s9, v2
	s_or_b32 s1, vcc_lo, s1
	s_and_not1_b32 exec_lo, exec_lo, s1
	s_cbranch_execz .LBB19_15
.LBB19_4:                               ; =>This Loop Header: Depth=1
                                        ;     Child Loop BB19_7 Depth 2
	s_and_saveexec_b32 s8, s0
	s_cbranch_execz .LBB19_3
; %bb.5:                                ;   in Loop: Header=BB19_4 Depth=1
	v_mov_b32_e32 v8, v5
	s_mov_b32 s10, 0
	s_branch .LBB19_7
.LBB19_6:                               ;   in Loop: Header=BB19_7 Depth=2
	v_add_nc_u32_e32 v8, 8, v8
	s_wait_loadcnt 0x0
	global_store_b64 v9, v[0:1], s[2:3] scale_offset
	v_cmp_le_i32_e32 vcc_lo, s9, v8
	s_or_b32 s10, vcc_lo, s10
	s_wait_xcnt 0x0
	s_and_not1_b32 exec_lo, exec_lo, s10
	s_cbranch_execz .LBB19_3
.LBB19_7:                               ;   Parent Loop BB19_4 Depth=1
                                        ; =>  This Inner Loop Header: Depth=2
	s_and_b32 vcc_lo, exec_lo, s4
	s_cbranch_vccz .LBB19_12
; %bb.8:                                ;   in Loop: Header=BB19_7 Depth=2
	s_delay_alu instid0(VALU_DEP_2)
	v_add_nc_u32_e32 v0, v7, v8
	s_cbranch_execnz .LBB19_10
.LBB19_9:                               ;   in Loop: Header=BB19_7 Depth=2
	v_add_nc_u32_e32 v0, v8, v4
	s_delay_alu instid0(VALU_DEP_1)
	v_mad_u32 v0, v0, s9, v2
.LBB19_10:                              ;   in Loop: Header=BB19_7 Depth=2
	global_load_b64 v[0:1], v0, s[6:7] scale_offset
	s_and_b32 vcc_lo, exec_lo, s4
	s_cbranch_vccz .LBB19_13
; %bb.11:                               ;   in Loop: Header=BB19_7 Depth=2
	v_add_nc_u32_e32 v9, v8, v3
	s_delay_alu instid0(VALU_DEP_1)
	v_mad_u32 v9, v9, s9, v2
	s_cbranch_execnz .LBB19_6
	s_branch .LBB19_14
.LBB19_12:                              ;   in Loop: Header=BB19_7 Depth=2
                                        ; implicit-def: $vgpr0
	s_branch .LBB19_9
.LBB19_13:                              ;   in Loop: Header=BB19_7 Depth=2
                                        ; implicit-def: $vgpr9
.LBB19_14:                              ;   in Loop: Header=BB19_7 Depth=2
	v_add_nc_u32_e32 v9, v6, v8
	s_branch .LBB19_6
.LBB19_15:
	s_endpgm
	.section	.rodata,"a",@progbits
	.p2align	6, 0x0
	.amdhsa_kernel _ZN9rocsparseL10bsr_gatherILj64ELj4ELj8EidEEv20rocsparse_direction_T2_PKS2_PKT3_PS5_S2_
		.amdhsa_group_segment_fixed_size 0
		.amdhsa_private_segment_fixed_size 0
		.amdhsa_kernarg_size 36
		.amdhsa_user_sgpr_count 2
		.amdhsa_user_sgpr_dispatch_ptr 0
		.amdhsa_user_sgpr_queue_ptr 0
		.amdhsa_user_sgpr_kernarg_segment_ptr 1
		.amdhsa_user_sgpr_dispatch_id 0
		.amdhsa_user_sgpr_kernarg_preload_length 0
		.amdhsa_user_sgpr_kernarg_preload_offset 0
		.amdhsa_user_sgpr_private_segment_size 0
		.amdhsa_wavefront_size32 1
		.amdhsa_uses_dynamic_stack 0
		.amdhsa_enable_private_segment 0
		.amdhsa_system_sgpr_workgroup_id_x 1
		.amdhsa_system_sgpr_workgroup_id_y 0
		.amdhsa_system_sgpr_workgroup_id_z 0
		.amdhsa_system_sgpr_workgroup_info 0
		.amdhsa_system_vgpr_workitem_id 1
		.amdhsa_next_free_vgpr 10
		.amdhsa_next_free_sgpr 11
		.amdhsa_named_barrier_count 0
		.amdhsa_reserve_vcc 1
		.amdhsa_float_round_mode_32 0
		.amdhsa_float_round_mode_16_64 0
		.amdhsa_float_denorm_mode_32 3
		.amdhsa_float_denorm_mode_16_64 3
		.amdhsa_fp16_overflow 0
		.amdhsa_memory_ordered 1
		.amdhsa_forward_progress 1
		.amdhsa_inst_pref_size 4
		.amdhsa_round_robin_scheduling 0
		.amdhsa_exception_fp_ieee_invalid_op 0
		.amdhsa_exception_fp_denorm_src 0
		.amdhsa_exception_fp_ieee_div_zero 0
		.amdhsa_exception_fp_ieee_overflow 0
		.amdhsa_exception_fp_ieee_underflow 0
		.amdhsa_exception_fp_ieee_inexact 0
		.amdhsa_exception_int_div_zero 0
	.end_amdhsa_kernel
	.section	.text._ZN9rocsparseL10bsr_gatherILj64ELj4ELj8EidEEv20rocsparse_direction_T2_PKS2_PKT3_PS5_S2_,"axG",@progbits,_ZN9rocsparseL10bsr_gatherILj64ELj4ELj8EidEEv20rocsparse_direction_T2_PKS2_PKT3_PS5_S2_,comdat
.Lfunc_end19:
	.size	_ZN9rocsparseL10bsr_gatherILj64ELj4ELj8EidEEv20rocsparse_direction_T2_PKS2_PKT3_PS5_S2_, .Lfunc_end19-_ZN9rocsparseL10bsr_gatherILj64ELj4ELj8EidEEv20rocsparse_direction_T2_PKS2_PKT3_PS5_S2_
                                        ; -- End function
	.set _ZN9rocsparseL10bsr_gatherILj64ELj4ELj8EidEEv20rocsparse_direction_T2_PKS2_PKT3_PS5_S2_.num_vgpr, 10
	.set _ZN9rocsparseL10bsr_gatherILj64ELj4ELj8EidEEv20rocsparse_direction_T2_PKS2_PKT3_PS5_S2_.num_agpr, 0
	.set _ZN9rocsparseL10bsr_gatherILj64ELj4ELj8EidEEv20rocsparse_direction_T2_PKS2_PKT3_PS5_S2_.numbered_sgpr, 11
	.set _ZN9rocsparseL10bsr_gatherILj64ELj4ELj8EidEEv20rocsparse_direction_T2_PKS2_PKT3_PS5_S2_.num_named_barrier, 0
	.set _ZN9rocsparseL10bsr_gatherILj64ELj4ELj8EidEEv20rocsparse_direction_T2_PKS2_PKT3_PS5_S2_.private_seg_size, 0
	.set _ZN9rocsparseL10bsr_gatherILj64ELj4ELj8EidEEv20rocsparse_direction_T2_PKS2_PKT3_PS5_S2_.uses_vcc, 1
	.set _ZN9rocsparseL10bsr_gatherILj64ELj4ELj8EidEEv20rocsparse_direction_T2_PKS2_PKT3_PS5_S2_.uses_flat_scratch, 0
	.set _ZN9rocsparseL10bsr_gatherILj64ELj4ELj8EidEEv20rocsparse_direction_T2_PKS2_PKT3_PS5_S2_.has_dyn_sized_stack, 0
	.set _ZN9rocsparseL10bsr_gatherILj64ELj4ELj8EidEEv20rocsparse_direction_T2_PKS2_PKT3_PS5_S2_.has_recursion, 0
	.set _ZN9rocsparseL10bsr_gatherILj64ELj4ELj8EidEEv20rocsparse_direction_T2_PKS2_PKT3_PS5_S2_.has_indirect_call, 0
	.section	.AMDGPU.csdata,"",@progbits
; Kernel info:
; codeLenInByte = 464
; TotalNumSgprs: 13
; NumVgprs: 10
; ScratchSize: 0
; MemoryBound: 0
; FloatMode: 240
; IeeeMode: 1
; LDSByteSize: 0 bytes/workgroup (compile time only)
; SGPRBlocks: 0
; VGPRBlocks: 0
; NumSGPRsForWavesPerEU: 13
; NumVGPRsForWavesPerEU: 10
; NamedBarCnt: 0
; Occupancy: 16
; WaveLimiterHint : 0
; COMPUTE_PGM_RSRC2:SCRATCH_EN: 0
; COMPUTE_PGM_RSRC2:USER_SGPR: 2
; COMPUTE_PGM_RSRC2:TRAP_HANDLER: 0
; COMPUTE_PGM_RSRC2:TGID_X_EN: 1
; COMPUTE_PGM_RSRC2:TGID_Y_EN: 0
; COMPUTE_PGM_RSRC2:TGID_Z_EN: 0
; COMPUTE_PGM_RSRC2:TIDIG_COMP_CNT: 1
	.section	.text._ZN9rocsparseL24bsrsm_upper_large_kernelILj256ELj16ELb1EdEEviiPKiS2_PKT2_iPS3_iPiS2_S7_21rocsparse_index_base_20rocsparse_diag_type_20rocsparse_direction_,"axG",@progbits,_ZN9rocsparseL24bsrsm_upper_large_kernelILj256ELj16ELb1EdEEviiPKiS2_PKT2_iPS3_iPiS2_S7_21rocsparse_index_base_20rocsparse_diag_type_20rocsparse_direction_,comdat
	.globl	_ZN9rocsparseL24bsrsm_upper_large_kernelILj256ELj16ELb1EdEEviiPKiS2_PKT2_iPS3_iPiS2_S7_21rocsparse_index_base_20rocsparse_diag_type_20rocsparse_direction_ ; -- Begin function _ZN9rocsparseL24bsrsm_upper_large_kernelILj256ELj16ELb1EdEEviiPKiS2_PKT2_iPS3_iPiS2_S7_21rocsparse_index_base_20rocsparse_diag_type_20rocsparse_direction_
	.p2align	8
	.type	_ZN9rocsparseL24bsrsm_upper_large_kernelILj256ELj16ELb1EdEEviiPKiS2_PKT2_iPS3_iPiS2_S7_21rocsparse_index_base_20rocsparse_diag_type_20rocsparse_direction_,@function
_ZN9rocsparseL24bsrsm_upper_large_kernelILj256ELj16ELb1EdEEviiPKiS2_PKT2_iPS3_iPiS2_S7_21rocsparse_index_base_20rocsparse_diag_type_20rocsparse_direction_: ; @_ZN9rocsparseL24bsrsm_upper_large_kernelILj256ELj16ELb1EdEEviiPKiS2_PKT2_iPS3_iPiS2_S7_21rocsparse_index_base_20rocsparse_diag_type_20rocsparse_direction_
; %bb.0:
	s_clause 0x1
	s_load_b64 s[24:25], s[0:1], 0x0
	s_load_b128 s[8:11], s[0:1], 0x8
	s_bfe_u32 s4, ttmp6, 0x4000c
	s_and_b32 s3, ttmp6, 15
	s_add_co_i32 s4, s4, 1
	s_getreg_b32 s5, hwreg(HW_REG_IB_STS2, 6, 4)
	s_mul_i32 s4, ttmp9, s4
	v_dual_lshrrev_b32 v4, 4, v0 :: v_dual_bitop2_b32 v8, 15, v0 bitop3:0x40
	s_add_co_i32 s3, s3, s4
	s_wait_kmcnt 0x0
	s_cvt_f32_u32 s2, s24
	s_sub_co_i32 s6, 0, s24
	s_delay_alu instid0(SALU_CYCLE_2) | instskip(SKIP_1) | instid1(TRANS32_DEP_1)
	v_rcp_iflag_f32_e32 v1, s2
	v_nop
	v_readfirstlane_b32 s2, v1
	s_mul_f32 s2, s2, 0x4f7ffffe
	s_delay_alu instid0(SALU_CYCLE_3) | instskip(NEXT) | instid1(SALU_CYCLE_3)
	s_cvt_u32_f32 s2, s2
	s_mul_i32 s6, s6, s2
	s_delay_alu instid0(SALU_CYCLE_1) | instskip(NEXT) | instid1(SALU_CYCLE_1)
	s_mul_hi_u32 s6, s2, s6
	s_add_co_i32 s2, s2, s6
	s_cmp_eq_u32 s5, 0
	s_load_b128 s[4:7], s[0:1], 0x38
	s_cselect_b32 s3, ttmp9, s3
	s_delay_alu instid0(SALU_CYCLE_1) | instskip(NEXT) | instid1(SALU_CYCLE_1)
	s_mul_hi_u32 s2, s3, s2
	s_mul_i32 s12, s2, s24
	s_add_co_i32 s13, s2, 1
	s_sub_co_i32 s12, s3, s12
	s_delay_alu instid0(SALU_CYCLE_1)
	s_sub_co_i32 s14, s12, s24
	s_cmp_ge_u32 s12, s24
	s_cselect_b32 s2, s13, s2
	s_cselect_b32 s12, s14, s12
	s_add_co_i32 s13, s2, 1
	s_cmp_ge_u32 s12, s24
	s_cselect_b32 s19, s13, s2
	s_delay_alu instid0(SALU_CYCLE_1) | instskip(SKIP_4) | instid1(SALU_CYCLE_1)
	s_mul_i32 s15, s19, s24
	s_lshl_b32 s19, s19, 4
	s_sub_co_i32 s2, s3, s15
	v_or_b32_e32 v1, s19, v4
	s_ashr_i32 s3, s2, 31
	s_lshl_b64 s[12:13], s[2:3], 2
	s_load_b64 s[2:3], s[0:1], 0x48
	s_wait_kmcnt 0x0
	s_add_nc_u64 s[6:7], s[6:7], s[12:13]
	s_load_b96 s[12:14], s[0:1], 0x50
	v_cmp_gt_i32_e32 vcc_lo, s25, v1
	s_load_b32 s6, s[6:7], 0x0
	s_wait_kmcnt 0x0
	s_ashr_i32 s7, s6, 31
	s_delay_alu instid0(SALU_CYCLE_1) | instskip(NEXT) | instid1(SALU_CYCLE_1)
	s_lshl_b64 s[16:17], s[6:7], 2
	s_add_nc_u64 s[8:9], s[8:9], s[16:17]
	s_load_b64 s[26:27], s[8:9], 0x0
	s_clause 0x1
	s_load_b96 s[16:18], s[0:1], 0x18
	s_load_b96 s[20:22], s[0:1], 0x28
	s_wait_xcnt 0x0
	s_not_b32 s0, s12
	s_wait_kmcnt 0x0
	s_add_co_i32 s23, s27, s0
	v_cmp_eq_u32_e64 s0, 0, v0
	s_sub_co_i32 s26, s26, s12
	s_mul_i32 s7, s6, s18
	s_cmp_lt_i32 s23, s26
	s_cbranch_scc1 .LBB20_20
; %bb.1:
	v_mad_u32 v2, s18, s23, v8
	v_cmp_gt_i32_e64 s1, s18, v8
	v_mov_b32_e32 v6, 0
	s_cmp_lg_u32 s14, 0
	s_mul_i32 s29, s22, s18
	s_cselect_b32 s27, -1, 0
	s_and_b32 s1, vcc_lo, s1
	s_mul_i32 s30, s18, s18
	s_lshl_b32 s31, s18, 4
	v_mul_lo_u32 v5, s18, v2
	s_branch .LBB20_3
.LBB20_2:                               ;   in Loop: Header=BB20_3 Depth=1
                                        ; implicit-def: $vgpr5
	s_cbranch_execnz .LBB20_21
.LBB20_3:                               ; =>This Loop Header: Depth=1
                                        ;     Child Loop BB20_18 Depth 2
                                        ;       Child Loop BB20_19 Depth 3
                                        ;     Child Loop BB20_9 Depth 2
                                        ;       Child Loop BB20_11 Depth 3
	s_wait_xcnt 0x0
	v_mov_b32_e32 v2, s23
	global_load_b32 v2, v2, s[10:11] scale_offset
	s_wait_loadcnt 0x0
	v_readfirstlane_b32 s8, v2
	s_sub_co_i32 s28, s8, s12
	s_delay_alu instid0(SALU_CYCLE_1)
	s_cmp_le_i32 s28, s6
	s_cbranch_scc1 .LBB20_2
; %bb.4:                                ;   in Loop: Header=BB20_3 Depth=1
	s_wait_xcnt 0x0
	s_and_saveexec_b32 s33, s0
	s_cbranch_execz .LBB20_6
; %bb.5:                                ;   in Loop: Header=BB20_3 Depth=1
	s_add_co_i32 s8, s28, s15
	s_delay_alu instid0(SALU_CYCLE_1)
	v_mov_b32_e32 v2, s8
	global_load_b32 v2, v2, s[4:5] scale_offset scope:SCOPE_DEV
	s_wait_loadcnt 0x0
	v_cmp_ne_u32_e32 vcc_lo, 0, v2
	s_cbranch_vccz .LBB20_16
.LBB20_6:                               ;   in Loop: Header=BB20_3 Depth=1
	s_wait_xcnt 0x0
	s_or_b32 exec_lo, exec_lo, s33
	global_wb scope:SCOPE_DEV
	s_wait_storecnt 0x0
	global_inv scope:SCOPE_DEV
	s_wait_loadcnt 0x0
	s_barrier_signal -1
	s_barrier_wait -1
	s_and_saveexec_b32 s8, s1
	s_cbranch_execz .LBB20_15
; %bb.7:                                ;   in Loop: Header=BB20_3 Depth=1
	v_mad_u32 v7, s29, s28, v1
	v_dual_mov_b32 v9, v5 :: v_dual_mov_b32 v10, v8
	s_mul_i32 s9, s23, s18
	s_mov_b32 s33, 0
	s_branch .LBB20_9
.LBB20_8:                               ;   in Loop: Header=BB20_9 Depth=2
	v_dual_add_nc_u32 v11, s7, v10 :: v_dual_add_nc_u32 v10, 16, v10
	v_add_nc_u32_e32 v9, s31, v9
	s_delay_alu instid0(VALU_DEP_2) | instskip(NEXT) | instid1(VALU_DEP_3)
	v_mad_u32 v11, v11, s22, v1
	v_cmp_le_i32_e32 vcc_lo, s18, v10
	s_or_b32 s33, vcc_lo, s33
	global_load_b64 v[12:13], v11, s[20:21] scale_offset
	s_wait_loadcnt 0x0
	v_add_f64_e64 v[2:3], v[12:13], -v[2:3]
	global_store_b64 v11, v[2:3], s[20:21] scale_offset
	s_wait_xcnt 0x0
	s_and_not1_b32 exec_lo, exec_lo, s33
	s_cbranch_execz .LBB20_15
.LBB20_9:                               ;   Parent Loop BB20_3 Depth=1
                                        ; =>  This Loop Header: Depth=2
                                        ;       Child Loop BB20_11 Depth 3
	v_mov_b64_e32 v[2:3], 0
	s_delay_alu instid0(VALU_DEP_3)
	v_mov_b32_e32 v11, v7
	s_mov_b32 s34, 0
	s_branch .LBB20_11
.LBB20_10:                              ;   in Loop: Header=BB20_11 Depth=3
	global_load_b64 v[14:15], v12, s[16:17] scale_offset
	global_load_b64 v[16:17], v11, s[20:21] scale_offset
	s_wait_xcnt 0x0
	v_add_nc_u32_e32 v11, s22, v11
	s_add_co_i32 s34, s34, 1
	s_delay_alu instid0(SALU_CYCLE_1)
	s_cmp_eq_u32 s18, s34
	s_wait_loadcnt 0x0
	v_fmac_f64_e32 v[2:3], v[14:15], v[16:17]
	s_cbranch_scc1 .LBB20_8
.LBB20_11:                              ;   Parent Loop BB20_3 Depth=1
                                        ;     Parent Loop BB20_9 Depth=2
                                        ; =>    This Inner Loop Header: Depth=3
	s_and_b32 vcc_lo, exec_lo, s27
	s_cbranch_vccz .LBB20_13
; %bb.12:                               ;   in Loop: Header=BB20_11 Depth=3
	s_add_co_i32 s35, s34, s9
	s_delay_alu instid0(SALU_CYCLE_1)
	v_mad_u32 v12, s35, s18, v10
	s_cbranch_execnz .LBB20_10
	s_branch .LBB20_14
.LBB20_13:                              ;   in Loop: Header=BB20_11 Depth=3
                                        ; implicit-def: $vgpr12
.LBB20_14:                              ;   in Loop: Header=BB20_11 Depth=3
	v_add_nc_u32_e32 v12, s34, v9
	s_branch .LBB20_10
.LBB20_15:                              ;   in Loop: Header=BB20_3 Depth=1
	s_or_b32 exec_lo, exec_lo, s8
	s_add_co_i32 s9, s23, -1
	s_cmp_le_i32 s23, s26
	v_subrev_nc_u32_e32 v5, s30, v5
	s_cselect_b32 s8, -1, 0
	s_mov_b32 s23, s9
	s_and_b32 vcc_lo, exec_lo, s8
	s_cbranch_vccz .LBB20_3
	s_branch .LBB20_21
.LBB20_16:                              ;   in Loop: Header=BB20_3 Depth=1
	s_ashr_i32 s9, s8, 31
	s_mov_b32 s34, 0
	s_lshl_b64 s[8:9], s[8:9], 2
	s_delay_alu instid0(SALU_CYCLE_1)
	s_add_nc_u64 s[8:9], s[4:5], s[8:9]
	s_branch .LBB20_18
.LBB20_17:                              ;   in Loop: Header=BB20_18 Depth=2
	global_load_b32 v2, v6, s[8:9] scope:SCOPE_DEV
	s_cmp_lt_u32 s34, 0xf43
	s_cselect_b32 s35, -1, 0
	s_delay_alu instid0(SALU_CYCLE_1)
	s_cmp_lg_u32 s35, 0
	s_add_co_ci_u32 s34, s34, 0
	s_wait_loadcnt 0x0
	v_cmp_ne_u32_e32 vcc_lo, 0, v2
	s_cbranch_vccnz .LBB20_6
.LBB20_18:                              ;   Parent Loop BB20_3 Depth=1
                                        ; =>  This Loop Header: Depth=2
                                        ;       Child Loop BB20_19 Depth 3
	s_cmp_eq_u32 s34, 0
	s_mov_b32 s35, s34
	s_cbranch_scc1 .LBB20_17
.LBB20_19:                              ;   Parent Loop BB20_3 Depth=1
                                        ;     Parent Loop BB20_18 Depth=2
                                        ; =>    This Inner Loop Header: Depth=3
	s_add_co_i32 s35, s35, -1
	s_sleep 1
	s_cmp_eq_u32 s35, 0
	s_cbranch_scc0 .LBB20_19
	s_branch .LBB20_17
.LBB20_20:
	s_mov_b32 s28, s24
.LBB20_21:
	s_cmp_lt_i32 s6, s24
	v_cmp_gt_i32_e32 vcc_lo, s25, v1
	s_cselect_b32 s0, -1, 0
	s_cmp_eq_u32 s6, s28
	s_cselect_b32 s1, -1, 0
	s_delay_alu instid0(SALU_CYCLE_1) | instskip(SKIP_2) | instid1(SALU_CYCLE_1)
	s_and_b32 s1, vcc_lo, s1
	s_cmp_gt_i32 s18, 0
	s_cselect_b32 s8, -1, 0
	s_and_b32 s1, s1, s8
	s_mov_b32 s8, 0
	s_and_b32 s9, s1, s0
	s_wait_xcnt 0x0
	s_and_saveexec_b32 s1, s9
	s_cbranch_execz .LBB20_37
; %bb.22:
	v_add_nc_u32_e32 v2, s7, v8
	s_cmp_eq_u32 s13, 0
	s_mov_b32 s10, 0
	s_cselect_b32 s8, -1, 0
	s_cmp_lg_u32 s14, 0
	v_mul_lo_u32 v2, s22, v2
	s_cselect_b32 s9, -1, 0
	s_add_co_i32 s11, s23, 1
	s_delay_alu instid0(SALU_CYCLE_1) | instskip(SKIP_4) | instid1(VALU_DEP_1)
	s_mul_i32 s13, s18, s11
	s_mul_i32 s11, s23, s18
	s_add_co_i32 s14, s13, -1
	s_lshl_b32 s13, s22, 4
	s_mul_i32 s14, s18, s14
	v_add3_u32 v9, v4, v2, s19
	s_mov_b32 s19, s18
	v_mov_b64_e32 v[4:5], 1.0
	s_and_not1_b32 vcc_lo, exec_lo, s8
	s_add_co_i32 s23, s19, -1
	s_cbranch_vccnz .LBB20_24
.LBB20_23:
	s_add_co_i32 s24, s23, s11
	s_delay_alu instid0(SALU_CYCLE_1) | instskip(NEXT) | instid1(SALU_CYCLE_1)
	s_mul_i32 s24, s24, s18
	s_add_co_i32 s24, s24, s23
	s_wait_loadcnt 0x0
	v_mov_b32_e32 v2, s24
	global_load_b64 v[4:5], v2, s[16:17] scale_offset
.LBB20_24:                              ; =>This Loop Header: Depth=1
                                        ;     Child Loop BB20_29 Depth 2
	s_add_co_i32 s24, s23, s7
	s_wait_loadcnt 0x0
	s_delay_alu instid0(VALU_DEP_1)
	v_cmp_eq_f64_e32 vcc_lo, 0, v[4:5]
	v_mad_u32 v6, s24, s22, v1
	global_load_b64 v[2:3], v6, s[20:21] scale_offset
	s_cbranch_vccnz .LBB20_26
; %bb.25:                               ;   in Loop: Header=BB20_24 Depth=1
	s_wait_loadcnt 0x0
	v_div_scale_f64 v[10:11], null, v[4:5], v[4:5], v[2:3]
	v_ashrrev_i32_e32 v7, 31, v6
	s_delay_alu instid0(VALU_DEP_2) | instskip(SKIP_1) | instid1(TRANS32_DEP_1)
	v_rcp_f64_e32 v[12:13], v[10:11]
	v_nop
	v_fma_f64 v[14:15], -v[10:11], v[12:13], 1.0
	s_delay_alu instid0(VALU_DEP_1) | instskip(NEXT) | instid1(VALU_DEP_1)
	v_fmac_f64_e32 v[12:13], v[12:13], v[14:15]
	v_fma_f64 v[14:15], -v[10:11], v[12:13], 1.0
	s_delay_alu instid0(VALU_DEP_1) | instskip(SKIP_1) | instid1(VALU_DEP_1)
	v_fmac_f64_e32 v[12:13], v[12:13], v[14:15]
	v_div_scale_f64 v[14:15], vcc_lo, v[2:3], v[4:5], v[2:3]
	v_mul_f64_e32 v[16:17], v[14:15], v[12:13]
	s_delay_alu instid0(VALU_DEP_1) | instskip(NEXT) | instid1(VALU_DEP_1)
	v_fma_f64 v[10:11], -v[10:11], v[16:17], v[14:15]
	v_div_fmas_f64 v[10:11], v[10:11], v[12:13], v[16:17]
	s_delay_alu instid0(VALU_DEP_1)
	v_div_fixup_f64 v[2:3], v[10:11], v[4:5], v[2:3]
	v_lshl_add_u64 v[4:5], v[6:7], 3, s[20:21]
	global_store_b64 v[4:5], v[2:3], off
	s_mov_b32 s24, exec_lo
	s_wait_xcnt 0x0
	v_cmpx_gt_i32_e64 s23, v8
	s_cbranch_execnz .LBB20_27
	s_branch .LBB20_33
.LBB20_26:                              ;   in Loop: Header=BB20_24 Depth=1
	s_mov_b32 s10, -1
	s_mov_b32 s24, exec_lo
	s_wait_xcnt 0x0
	v_cmpx_gt_i32_e64 s23, v8
	s_cbranch_execz .LBB20_33
.LBB20_27:                              ;   in Loop: Header=BB20_24 Depth=1
	v_dual_mov_b32 v4, v9 :: v_dual_mov_b32 v5, v8
	s_mov_b32 s25, 0
	s_branch .LBB20_29
.LBB20_28:                              ;   in Loop: Header=BB20_29 Depth=2
	global_load_b64 v[10:11], v6, s[16:17] scale_offset
	global_load_b64 v[12:13], v4, s[20:21] scale_offset
	v_add_nc_u32_e32 v5, 16, v5
	s_delay_alu instid0(VALU_DEP_1)
	v_cmp_le_i32_e32 vcc_lo, s23, v5
	s_or_b32 s25, vcc_lo, s25
	s_wait_loadcnt 0x0
	s_wait_xcnt 0x1
	v_fma_f64 v[6:7], -v[2:3], v[10:11], v[12:13]
	global_store_b64 v4, v[6:7], s[20:21] scale_offset
	s_wait_xcnt 0x0
	v_add_nc_u32_e32 v4, s13, v4
	s_and_not1_b32 exec_lo, exec_lo, s25
	s_cbranch_execz .LBB20_33
.LBB20_29:                              ;   Parent Loop BB20_24 Depth=1
                                        ; =>  This Inner Loop Header: Depth=2
	s_and_b32 vcc_lo, exec_lo, s9
	s_cbranch_vccz .LBB20_31
; %bb.30:                               ;   in Loop: Header=BB20_29 Depth=2
	v_add_nc_u32_e32 v6, s14, v5
	s_cbranch_execnz .LBB20_28
	s_branch .LBB20_32
.LBB20_31:                              ;   in Loop: Header=BB20_29 Depth=2
                                        ; implicit-def: $vgpr6
.LBB20_32:                              ;   in Loop: Header=BB20_29 Depth=2
	v_add_nc_u32_e32 v6, s11, v5
	s_delay_alu instid0(VALU_DEP_1)
	v_mad_u32 v6, v6, s18, s23
	s_branch .LBB20_28
.LBB20_33:                              ;   in Loop: Header=BB20_24 Depth=1
	s_or_b32 exec_lo, exec_lo, s24
; %bb.34:                               ;   in Loop: Header=BB20_24 Depth=1
	s_sub_co_i32 s14, s14, s18
	s_cmp_lt_i32 s19, 2
	s_cbranch_scc1 .LBB20_36
; %bb.35:                               ;   in Loop: Header=BB20_24 Depth=1
	s_mov_b32 s19, s23
	v_mov_b64_e32 v[4:5], 1.0
	s_and_not1_b32 vcc_lo, exec_lo, s8
	s_add_co_i32 s23, s19, -1
	s_cbranch_vccnz .LBB20_24
	s_branch .LBB20_23
.LBB20_36:
	s_and_b32 s8, s10, exec_lo
.LBB20_37:
	s_or_b32 exec_lo, exec_lo, s1
	v_cmp_eq_u32_e32 vcc_lo, 0, v0
	global_wb scope:SCOPE_DEV
	s_wait_loadcnt 0x0
	s_wait_storecnt 0x0
	global_inv scope:SCOPE_DEV
	s_wait_loadcnt 0x0
	s_barrier_signal -1
	s_barrier_wait -1
	s_and_b32 s0, vcc_lo, s0
	s_delay_alu instid0(SALU_CYCLE_1)
	s_and_saveexec_b32 s1, s0
	s_cbranch_execz .LBB20_41
; %bb.38:
	s_add_co_i32 s0, s6, s15
	s_delay_alu instid0(SALU_CYCLE_1)
	v_dual_mov_b32 v0, 1 :: v_dual_mov_b32 v1, s0
	global_store_b32 v1, v0, s[4:5] scale_offset scope:SCOPE_DEV
	s_wait_xcnt 0x0
	s_and_b32 exec_lo, exec_lo, s8
	s_cbranch_execz .LBB20_41
; %bb.39:
	v_mbcnt_lo_u32_b32 v0, exec_lo, 0
	s_delay_alu instid0(VALU_DEP_1)
	v_cmp_eq_u32_e32 vcc_lo, 0, v0
	s_and_b32 exec_lo, exec_lo, vcc_lo
	s_cbranch_execz .LBB20_41
; %bb.40:
	s_add_co_i32 s0, s6, s12
	s_delay_alu instid0(SALU_CYCLE_1)
	v_dual_mov_b32 v0, 0 :: v_dual_mov_b32 v1, s0
	global_atomic_min_i32 v0, v1, s[2:3] scope:SCOPE_DEV
.LBB20_41:
	s_endpgm
	.section	.rodata,"a",@progbits
	.p2align	6, 0x0
	.amdhsa_kernel _ZN9rocsparseL24bsrsm_upper_large_kernelILj256ELj16ELb1EdEEviiPKiS2_PKT2_iPS3_iPiS2_S7_21rocsparse_index_base_20rocsparse_diag_type_20rocsparse_direction_
		.amdhsa_group_segment_fixed_size 0
		.amdhsa_private_segment_fixed_size 0
		.amdhsa_kernarg_size 92
		.amdhsa_user_sgpr_count 2
		.amdhsa_user_sgpr_dispatch_ptr 0
		.amdhsa_user_sgpr_queue_ptr 0
		.amdhsa_user_sgpr_kernarg_segment_ptr 1
		.amdhsa_user_sgpr_dispatch_id 0
		.amdhsa_user_sgpr_kernarg_preload_length 0
		.amdhsa_user_sgpr_kernarg_preload_offset 0
		.amdhsa_user_sgpr_private_segment_size 0
		.amdhsa_wavefront_size32 1
		.amdhsa_uses_dynamic_stack 0
		.amdhsa_enable_private_segment 0
		.amdhsa_system_sgpr_workgroup_id_x 1
		.amdhsa_system_sgpr_workgroup_id_y 0
		.amdhsa_system_sgpr_workgroup_id_z 0
		.amdhsa_system_sgpr_workgroup_info 0
		.amdhsa_system_vgpr_workitem_id 0
		.amdhsa_next_free_vgpr 18
		.amdhsa_next_free_sgpr 36
		.amdhsa_named_barrier_count 0
		.amdhsa_reserve_vcc 1
		.amdhsa_float_round_mode_32 0
		.amdhsa_float_round_mode_16_64 0
		.amdhsa_float_denorm_mode_32 3
		.amdhsa_float_denorm_mode_16_64 3
		.amdhsa_fp16_overflow 0
		.amdhsa_memory_ordered 1
		.amdhsa_forward_progress 1
		.amdhsa_inst_pref_size 13
		.amdhsa_round_robin_scheduling 0
		.amdhsa_exception_fp_ieee_invalid_op 0
		.amdhsa_exception_fp_denorm_src 0
		.amdhsa_exception_fp_ieee_div_zero 0
		.amdhsa_exception_fp_ieee_overflow 0
		.amdhsa_exception_fp_ieee_underflow 0
		.amdhsa_exception_fp_ieee_inexact 0
		.amdhsa_exception_int_div_zero 0
	.end_amdhsa_kernel
	.section	.text._ZN9rocsparseL24bsrsm_upper_large_kernelILj256ELj16ELb1EdEEviiPKiS2_PKT2_iPS3_iPiS2_S7_21rocsparse_index_base_20rocsparse_diag_type_20rocsparse_direction_,"axG",@progbits,_ZN9rocsparseL24bsrsm_upper_large_kernelILj256ELj16ELb1EdEEviiPKiS2_PKT2_iPS3_iPiS2_S7_21rocsparse_index_base_20rocsparse_diag_type_20rocsparse_direction_,comdat
.Lfunc_end20:
	.size	_ZN9rocsparseL24bsrsm_upper_large_kernelILj256ELj16ELb1EdEEviiPKiS2_PKT2_iPS3_iPiS2_S7_21rocsparse_index_base_20rocsparse_diag_type_20rocsparse_direction_, .Lfunc_end20-_ZN9rocsparseL24bsrsm_upper_large_kernelILj256ELj16ELb1EdEEviiPKiS2_PKT2_iPS3_iPiS2_S7_21rocsparse_index_base_20rocsparse_diag_type_20rocsparse_direction_
                                        ; -- End function
	.set _ZN9rocsparseL24bsrsm_upper_large_kernelILj256ELj16ELb1EdEEviiPKiS2_PKT2_iPS3_iPiS2_S7_21rocsparse_index_base_20rocsparse_diag_type_20rocsparse_direction_.num_vgpr, 18
	.set _ZN9rocsparseL24bsrsm_upper_large_kernelILj256ELj16ELb1EdEEviiPKiS2_PKT2_iPS3_iPiS2_S7_21rocsparse_index_base_20rocsparse_diag_type_20rocsparse_direction_.num_agpr, 0
	.set _ZN9rocsparseL24bsrsm_upper_large_kernelILj256ELj16ELb1EdEEviiPKiS2_PKT2_iPS3_iPiS2_S7_21rocsparse_index_base_20rocsparse_diag_type_20rocsparse_direction_.numbered_sgpr, 36
	.set _ZN9rocsparseL24bsrsm_upper_large_kernelILj256ELj16ELb1EdEEviiPKiS2_PKT2_iPS3_iPiS2_S7_21rocsparse_index_base_20rocsparse_diag_type_20rocsparse_direction_.num_named_barrier, 0
	.set _ZN9rocsparseL24bsrsm_upper_large_kernelILj256ELj16ELb1EdEEviiPKiS2_PKT2_iPS3_iPiS2_S7_21rocsparse_index_base_20rocsparse_diag_type_20rocsparse_direction_.private_seg_size, 0
	.set _ZN9rocsparseL24bsrsm_upper_large_kernelILj256ELj16ELb1EdEEviiPKiS2_PKT2_iPS3_iPiS2_S7_21rocsparse_index_base_20rocsparse_diag_type_20rocsparse_direction_.uses_vcc, 1
	.set _ZN9rocsparseL24bsrsm_upper_large_kernelILj256ELj16ELb1EdEEviiPKiS2_PKT2_iPS3_iPiS2_S7_21rocsparse_index_base_20rocsparse_diag_type_20rocsparse_direction_.uses_flat_scratch, 0
	.set _ZN9rocsparseL24bsrsm_upper_large_kernelILj256ELj16ELb1EdEEviiPKiS2_PKT2_iPS3_iPiS2_S7_21rocsparse_index_base_20rocsparse_diag_type_20rocsparse_direction_.has_dyn_sized_stack, 0
	.set _ZN9rocsparseL24bsrsm_upper_large_kernelILj256ELj16ELb1EdEEviiPKiS2_PKT2_iPS3_iPiS2_S7_21rocsparse_index_base_20rocsparse_diag_type_20rocsparse_direction_.has_recursion, 0
	.set _ZN9rocsparseL24bsrsm_upper_large_kernelILj256ELj16ELb1EdEEviiPKiS2_PKT2_iPS3_iPiS2_S7_21rocsparse_index_base_20rocsparse_diag_type_20rocsparse_direction_.has_indirect_call, 0
	.section	.AMDGPU.csdata,"",@progbits
; Kernel info:
; codeLenInByte = 1664
; TotalNumSgprs: 38
; NumVgprs: 18
; ScratchSize: 0
; MemoryBound: 0
; FloatMode: 240
; IeeeMode: 1
; LDSByteSize: 0 bytes/workgroup (compile time only)
; SGPRBlocks: 0
; VGPRBlocks: 1
; NumSGPRsForWavesPerEU: 38
; NumVGPRsForWavesPerEU: 18
; NamedBarCnt: 0
; Occupancy: 16
; WaveLimiterHint : 1
; COMPUTE_PGM_RSRC2:SCRATCH_EN: 0
; COMPUTE_PGM_RSRC2:USER_SGPR: 2
; COMPUTE_PGM_RSRC2:TRAP_HANDLER: 0
; COMPUTE_PGM_RSRC2:TGID_X_EN: 1
; COMPUTE_PGM_RSRC2:TGID_Y_EN: 0
; COMPUTE_PGM_RSRC2:TGID_Z_EN: 0
; COMPUTE_PGM_RSRC2:TIDIG_COMP_CNT: 0
	.section	.text._ZN9rocsparseL24bsrsm_lower_large_kernelILj256ELj16ELb1EdEEviiPKiS2_PKT2_iPS3_iPiS2_S7_21rocsparse_index_base_20rocsparse_diag_type_20rocsparse_direction_,"axG",@progbits,_ZN9rocsparseL24bsrsm_lower_large_kernelILj256ELj16ELb1EdEEviiPKiS2_PKT2_iPS3_iPiS2_S7_21rocsparse_index_base_20rocsparse_diag_type_20rocsparse_direction_,comdat
	.globl	_ZN9rocsparseL24bsrsm_lower_large_kernelILj256ELj16ELb1EdEEviiPKiS2_PKT2_iPS3_iPiS2_S7_21rocsparse_index_base_20rocsparse_diag_type_20rocsparse_direction_ ; -- Begin function _ZN9rocsparseL24bsrsm_lower_large_kernelILj256ELj16ELb1EdEEviiPKiS2_PKT2_iPS3_iPiS2_S7_21rocsparse_index_base_20rocsparse_diag_type_20rocsparse_direction_
	.p2align	8
	.type	_ZN9rocsparseL24bsrsm_lower_large_kernelILj256ELj16ELb1EdEEviiPKiS2_PKT2_iPS3_iPiS2_S7_21rocsparse_index_base_20rocsparse_diag_type_20rocsparse_direction_,@function
_ZN9rocsparseL24bsrsm_lower_large_kernelILj256ELj16ELb1EdEEviiPKiS2_PKT2_iPS3_iPiS2_S7_21rocsparse_index_base_20rocsparse_diag_type_20rocsparse_direction_: ; @_ZN9rocsparseL24bsrsm_lower_large_kernelILj256ELj16ELb1EdEEviiPKiS2_PKT2_iPS3_iPiS2_S7_21rocsparse_index_base_20rocsparse_diag_type_20rocsparse_direction_
; %bb.0:
	s_clause 0x1
	s_load_b64 s[24:25], s[0:1], 0x0
	s_load_b128 s[8:11], s[0:1], 0x8
	s_bfe_u32 s4, ttmp6, 0x4000c
	s_and_b32 s3, ttmp6, 15
	s_add_co_i32 s4, s4, 1
	s_getreg_b32 s5, hwreg(HW_REG_IB_STS2, 6, 4)
	s_mul_i32 s4, ttmp9, s4
	v_dual_lshrrev_b32 v4, 4, v0 :: v_dual_bitop2_b32 v5, 15, v0 bitop3:0x40
	s_add_co_i32 s3, s3, s4
	s_wait_kmcnt 0x0
	s_cvt_f32_u32 s2, s24
	s_sub_co_i32 s6, 0, s24
	s_delay_alu instid0(SALU_CYCLE_2) | instskip(SKIP_1) | instid1(TRANS32_DEP_1)
	v_rcp_iflag_f32_e32 v1, s2
	v_nop
	v_readfirstlane_b32 s2, v1
	s_mul_f32 s2, s2, 0x4f7ffffe
	s_delay_alu instid0(SALU_CYCLE_3) | instskip(NEXT) | instid1(SALU_CYCLE_3)
	s_cvt_u32_f32 s2, s2
	s_mul_i32 s6, s6, s2
	s_delay_alu instid0(SALU_CYCLE_1) | instskip(NEXT) | instid1(SALU_CYCLE_1)
	s_mul_hi_u32 s6, s2, s6
	s_add_co_i32 s2, s2, s6
	s_cmp_eq_u32 s5, 0
	s_load_b128 s[4:7], s[0:1], 0x38
	s_cselect_b32 s3, ttmp9, s3
	s_delay_alu instid0(SALU_CYCLE_1) | instskip(NEXT) | instid1(SALU_CYCLE_1)
	s_mul_hi_u32 s2, s3, s2
	s_mul_i32 s12, s2, s24
	s_add_co_i32 s13, s2, 1
	s_sub_co_i32 s12, s3, s12
	s_delay_alu instid0(SALU_CYCLE_1)
	s_sub_co_i32 s14, s12, s24
	s_cmp_ge_u32 s12, s24
	s_cselect_b32 s2, s13, s2
	s_cselect_b32 s12, s14, s12
	s_add_co_i32 s13, s2, 1
	s_cmp_ge_u32 s12, s24
	s_cselect_b32 s19, s13, s2
	s_delay_alu instid0(SALU_CYCLE_1) | instskip(SKIP_4) | instid1(SALU_CYCLE_1)
	s_mul_i32 s15, s19, s24
	s_lshl_b32 s19, s19, 4
	s_sub_co_i32 s2, s3, s15
	v_or_b32_e32 v1, s19, v4
	s_ashr_i32 s3, s2, 31
	s_lshl_b64 s[12:13], s[2:3], 2
	s_load_b64 s[2:3], s[0:1], 0x48
	s_wait_kmcnt 0x0
	s_add_nc_u64 s[6:7], s[6:7], s[12:13]
	v_cmp_gt_i32_e32 vcc_lo, s25, v1
	s_load_b32 s6, s[6:7], 0x0
	s_wait_kmcnt 0x0
	s_ashr_i32 s7, s6, 31
	s_delay_alu instid0(SALU_CYCLE_1) | instskip(NEXT) | instid1(SALU_CYCLE_1)
	s_lshl_b64 s[12:13], s[6:7], 2
	s_add_nc_u64 s[26:27], s[8:9], s[12:13]
	s_load_b96 s[12:14], s[0:1], 0x50
	s_load_b64 s[8:9], s[26:27], 0x0
	s_clause 0x1
	s_load_b96 s[16:18], s[0:1], 0x18
	s_load_b96 s[20:22], s[0:1], 0x28
	s_wait_xcnt 0x0
	v_cmp_eq_u32_e64 s0, 0, v0
	s_wait_kmcnt 0x0
	s_sub_co_i32 s23, s8, s12
	s_cmp_ge_i32 s8, s9
	s_mul_i32 s7, s6, s18
	s_mul_i32 s26, s18, s18
	s_cbranch_scc1 .LBB21_20
; %bb.1:
	v_mad_u32 v2, s18, s23, v5
	v_cmp_gt_i32_e64 s1, s18, v5
	s_sub_co_i32 s27, s9, s12
	v_mov_b32_e32 v7, 0
	s_cmp_lg_u32 s14, 0
	s_mul_i32 s30, s22, s18
	s_cselect_b32 s28, -1, 0
	s_and_b32 s29, vcc_lo, s1
	s_lshl_b32 s31, s18, 4
	v_mul_lo_u32 v6, s18, v2
	s_branch .LBB21_3
.LBB21_2:                               ;   in Loop: Header=BB21_3 Depth=1
                                        ; implicit-def: $vgpr6
	s_cbranch_execnz .LBB21_21
.LBB21_3:                               ; =>This Loop Header: Depth=1
                                        ;     Child Loop BB21_18 Depth 2
                                        ;       Child Loop BB21_19 Depth 3
                                        ;     Child Loop BB21_9 Depth 2
                                        ;       Child Loop BB21_11 Depth 3
	s_wait_xcnt 0x0
	v_mov_b32_e32 v2, s23
	global_load_b32 v2, v2, s[10:11] scale_offset
	s_wait_loadcnt 0x0
	v_readfirstlane_b32 s1, v2
	s_sub_co_i32 s1, s1, s12
	s_delay_alu instid0(SALU_CYCLE_1)
	s_cmp_ge_i32 s1, s6
	s_cbranch_scc1 .LBB21_2
; %bb.4:                                ;   in Loop: Header=BB21_3 Depth=1
	s_wait_xcnt 0x0
	s_and_saveexec_b32 s33, s0
	s_cbranch_execz .LBB21_6
; %bb.5:                                ;   in Loop: Header=BB21_3 Depth=1
	s_add_co_i32 s8, s1, s15
	s_delay_alu instid0(SALU_CYCLE_1)
	v_mov_b32_e32 v2, s8
	global_load_b32 v2, v2, s[4:5] scale_offset scope:SCOPE_DEV
	s_wait_loadcnt 0x0
	v_cmp_ne_u32_e32 vcc_lo, 0, v2
	s_cbranch_vccz .LBB21_16
.LBB21_6:                               ;   in Loop: Header=BB21_3 Depth=1
	s_wait_xcnt 0x0
	s_or_b32 exec_lo, exec_lo, s33
	global_wb scope:SCOPE_DEV
	s_wait_storecnt 0x0
	global_inv scope:SCOPE_DEV
	s_wait_loadcnt 0x0
	s_barrier_signal -1
	s_barrier_wait -1
	s_and_saveexec_b32 s8, s29
	s_cbranch_execz .LBB21_15
; %bb.7:                                ;   in Loop: Header=BB21_3 Depth=1
	v_mad_u32 v8, s30, s1, v1
	v_dual_mov_b32 v9, v6 :: v_dual_mov_b32 v10, v5
	s_mul_i32 s9, s23, s18
	s_mov_b32 s33, 0
	s_branch .LBB21_9
.LBB21_8:                               ;   in Loop: Header=BB21_9 Depth=2
	v_dual_add_nc_u32 v11, s7, v10 :: v_dual_add_nc_u32 v10, 16, v10
	v_add_nc_u32_e32 v9, s31, v9
	s_delay_alu instid0(VALU_DEP_2) | instskip(NEXT) | instid1(VALU_DEP_3)
	v_mad_u32 v11, v11, s22, v1
	v_cmp_le_i32_e32 vcc_lo, s18, v10
	s_or_b32 s33, vcc_lo, s33
	global_load_b64 v[12:13], v11, s[20:21] scale_offset
	s_wait_loadcnt 0x0
	v_add_f64_e64 v[2:3], v[12:13], -v[2:3]
	global_store_b64 v11, v[2:3], s[20:21] scale_offset
	s_wait_xcnt 0x0
	s_and_not1_b32 exec_lo, exec_lo, s33
	s_cbranch_execz .LBB21_15
.LBB21_9:                               ;   Parent Loop BB21_3 Depth=1
                                        ; =>  This Loop Header: Depth=2
                                        ;       Child Loop BB21_11 Depth 3
	v_mov_b64_e32 v[2:3], 0
	s_delay_alu instid0(VALU_DEP_3)
	v_mov_b32_e32 v11, v8
	s_mov_b32 s34, 0
	s_branch .LBB21_11
.LBB21_10:                              ;   in Loop: Header=BB21_11 Depth=3
	global_load_b64 v[14:15], v12, s[16:17] scale_offset
	global_load_b64 v[16:17], v11, s[20:21] scale_offset
	s_wait_xcnt 0x0
	v_add_nc_u32_e32 v11, s22, v11
	s_add_co_i32 s34, s34, 1
	s_delay_alu instid0(SALU_CYCLE_1)
	s_cmp_eq_u32 s18, s34
	s_wait_loadcnt 0x0
	v_fmac_f64_e32 v[2:3], v[14:15], v[16:17]
	s_cbranch_scc1 .LBB21_8
.LBB21_11:                              ;   Parent Loop BB21_3 Depth=1
                                        ;     Parent Loop BB21_9 Depth=2
                                        ; =>    This Inner Loop Header: Depth=3
	s_and_b32 vcc_lo, exec_lo, s28
	s_cbranch_vccz .LBB21_13
; %bb.12:                               ;   in Loop: Header=BB21_11 Depth=3
	s_add_co_i32 s35, s34, s9
	s_delay_alu instid0(SALU_CYCLE_1)
	v_mad_u32 v12, s35, s18, v10
	s_cbranch_execnz .LBB21_10
	s_branch .LBB21_14
.LBB21_13:                              ;   in Loop: Header=BB21_11 Depth=3
                                        ; implicit-def: $vgpr12
.LBB21_14:                              ;   in Loop: Header=BB21_11 Depth=3
	v_add_nc_u32_e32 v12, s34, v9
	s_branch .LBB21_10
.LBB21_15:                              ;   in Loop: Header=BB21_3 Depth=1
	s_or_b32 exec_lo, exec_lo, s8
	s_add_co_i32 s23, s23, 1
	v_add_nc_u32_e32 v6, s26, v6
	s_cmp_ge_i32 s23, s27
	s_cselect_b32 s8, -1, 0
	s_delay_alu instid0(SALU_CYCLE_1)
	s_and_b32 vcc_lo, exec_lo, s8
	s_cbranch_vccz .LBB21_3
	s_branch .LBB21_21
.LBB21_16:                              ;   in Loop: Header=BB21_3 Depth=1
	s_ashr_i32 s9, s8, 31
	s_mov_b32 s34, 0
	s_lshl_b64 s[8:9], s[8:9], 2
	s_delay_alu instid0(SALU_CYCLE_1)
	s_add_nc_u64 s[8:9], s[4:5], s[8:9]
	s_branch .LBB21_18
.LBB21_17:                              ;   in Loop: Header=BB21_18 Depth=2
	global_load_b32 v2, v7, s[8:9] scope:SCOPE_DEV
	s_cmp_lt_u32 s34, 0xf43
	s_cselect_b32 s35, -1, 0
	s_delay_alu instid0(SALU_CYCLE_1)
	s_cmp_lg_u32 s35, 0
	s_add_co_ci_u32 s34, s34, 0
	s_wait_loadcnt 0x0
	v_cmp_ne_u32_e32 vcc_lo, 0, v2
	s_cbranch_vccnz .LBB21_6
.LBB21_18:                              ;   Parent Loop BB21_3 Depth=1
                                        ; =>  This Loop Header: Depth=2
                                        ;       Child Loop BB21_19 Depth 3
	s_cmp_eq_u32 s34, 0
	s_mov_b32 s35, s34
	s_cbranch_scc1 .LBB21_17
.LBB21_19:                              ;   Parent Loop BB21_3 Depth=1
                                        ;     Parent Loop BB21_18 Depth=2
                                        ; =>    This Inner Loop Header: Depth=3
	s_add_co_i32 s35, s35, -1
	s_sleep 1
	s_cmp_eq_u32 s35, 0
	s_cbranch_scc0 .LBB21_19
	s_branch .LBB21_17
.LBB21_20:
	s_mov_b32 s1, s24
.LBB21_21:
	s_cmp_lt_i32 s6, s24
	v_cmp_gt_i32_e32 vcc_lo, s25, v1
	s_cselect_b32 s0, -1, 0
	s_cmp_eq_u32 s6, s1
	s_cselect_b32 s1, -1, 0
	s_delay_alu instid0(SALU_CYCLE_1) | instskip(SKIP_2) | instid1(SALU_CYCLE_1)
	s_and_b32 s1, vcc_lo, s1
	s_cmp_gt_i32 s18, 0
	s_cselect_b32 s8, -1, 0
	s_and_b32 s1, s1, s8
	s_mov_b32 s8, 0
	s_and_b32 s9, s1, s0
	s_wait_xcnt 0x0
	s_and_saveexec_b32 s1, s9
	s_cbranch_execz .LBB21_36
; %bb.22:
	v_dual_add_nc_u32 v2, s7, v5 :: v_dual_add_nc_u32 v8, 1, v5
	s_cmp_eq_u32 s13, 0
	s_mul_i32 s10, s23, s18
	s_cselect_b32 s9, -1, 0
	s_delay_alu instid0(VALU_DEP_1)
	v_mad_u32 v2, s22, v2, s22
	s_cmp_lg_u32 s14, 0
	s_mul_i32 s14, s23, s26
	s_cselect_b32 s11, -1, 0
	s_lshl_b32 s13, s22, 4
	s_mov_b32 s23, 0
	s_delay_alu instid0(VALU_DEP_1)
	v_add3_u32 v9, v4, v2, s19
	s_add_co_i32 s19, s18, 1
	s_branch .LBB21_24
.LBB21_23:                              ;   in Loop: Header=BB21_24 Depth=1
	s_or_b32 exec_lo, exec_lo, s24
	v_add_nc_u32_e32 v9, s22, v9
	s_add_co_i32 s8, s8, 1
	s_add_co_i32 s14, s14, s19
	s_cmp_eq_u32 s8, s18
	s_cbranch_scc1 .LBB21_35
.LBB21_24:                              ; =>This Loop Header: Depth=1
                                        ;     Child Loop BB21_31 Depth 2
	v_mov_b64_e32 v[4:5], 1.0
	s_and_not1_b32 vcc_lo, exec_lo, s9
	s_cbranch_vccnz .LBB21_26
; %bb.25:                               ;   in Loop: Header=BB21_24 Depth=1
	s_add_co_i32 s24, s8, s10
	s_delay_alu instid0(SALU_CYCLE_1) | instskip(NEXT) | instid1(SALU_CYCLE_1)
	s_mul_i32 s24, s24, s18
	s_add_co_i32 s24, s24, s8
	s_wait_loadcnt 0x0
	v_mov_b32_e32 v2, s24
	global_load_b64 v[4:5], v2, s[16:17] scale_offset
.LBB21_26:                              ;   in Loop: Header=BB21_24 Depth=1
	s_add_co_i32 s24, s8, s7
	s_wait_loadcnt 0x0
	s_delay_alu instid0(VALU_DEP_1)
	v_cmp_eq_f64_e32 vcc_lo, 0, v[4:5]
	v_mad_u32 v6, s24, s22, v1
	global_load_b64 v[2:3], v6, s[20:21] scale_offset
	s_cbranch_vccnz .LBB21_28
; %bb.27:                               ;   in Loop: Header=BB21_24 Depth=1
	s_wait_loadcnt 0x0
	v_div_scale_f64 v[10:11], null, v[4:5], v[4:5], v[2:3]
	v_ashrrev_i32_e32 v7, 31, v6
	s_delay_alu instid0(VALU_DEP_2) | instskip(SKIP_1) | instid1(TRANS32_DEP_1)
	v_rcp_f64_e32 v[12:13], v[10:11]
	v_nop
	v_fma_f64 v[14:15], -v[10:11], v[12:13], 1.0
	s_delay_alu instid0(VALU_DEP_1) | instskip(NEXT) | instid1(VALU_DEP_1)
	v_fmac_f64_e32 v[12:13], v[12:13], v[14:15]
	v_fma_f64 v[14:15], -v[10:11], v[12:13], 1.0
	s_delay_alu instid0(VALU_DEP_1) | instskip(SKIP_1) | instid1(VALU_DEP_1)
	v_fmac_f64_e32 v[12:13], v[12:13], v[14:15]
	v_div_scale_f64 v[14:15], vcc_lo, v[2:3], v[4:5], v[2:3]
	v_mul_f64_e32 v[16:17], v[14:15], v[12:13]
	s_delay_alu instid0(VALU_DEP_1) | instskip(NEXT) | instid1(VALU_DEP_1)
	v_fma_f64 v[10:11], -v[10:11], v[16:17], v[14:15]
	v_div_fmas_f64 v[10:11], v[10:11], v[12:13], v[16:17]
	s_delay_alu instid0(VALU_DEP_1)
	v_div_fixup_f64 v[2:3], v[10:11], v[4:5], v[2:3]
	v_lshl_add_u64 v[4:5], v[6:7], 3, s[20:21]
	global_store_b64 v[4:5], v[2:3], off
	s_wait_xcnt 0x0
	v_add_nc_u32_e32 v4, s8, v8
	s_mov_b32 s24, exec_lo
	s_delay_alu instid0(VALU_DEP_1)
	v_cmpx_gt_i32_e64 s18, v4
	s_cbranch_execz .LBB21_23
	s_branch .LBB21_29
.LBB21_28:                              ;   in Loop: Header=BB21_24 Depth=1
	s_mov_b32 s23, -1
	v_add_nc_u32_e32 v4, s8, v8
	s_mov_b32 s24, exec_lo
	s_wait_xcnt 0x0
	s_delay_alu instid0(VALU_DEP_1)
	v_cmpx_gt_i32_e64 s18, v4
	s_cbranch_execz .LBB21_23
.LBB21_29:                              ;   in Loop: Header=BB21_24 Depth=1
	v_dual_mov_b32 v5, v9 :: v_dual_mov_b32 v6, v8
	s_mov_b32 s25, 0
	s_branch .LBB21_31
.LBB21_30:                              ;   in Loop: Header=BB21_31 Depth=2
	global_load_b64 v[10:11], v7, s[16:17] scale_offset
	global_load_b64 v[12:13], v5, s[20:21] scale_offset
	v_dual_add_nc_u32 v6, 16, v6 :: v_dual_add_nc_u32 v4, 16, v4
	s_wait_loadcnt 0x0
	v_fma_f64 v[10:11], -v[2:3], v[10:11], v[12:13]
	global_store_b64 v5, v[10:11], s[20:21] scale_offset
	s_wait_xcnt 0x0
	v_dual_add_nc_u32 v5, s13, v5 :: v_dual_add_nc_u32 v7, s8, v6
	s_delay_alu instid0(VALU_DEP_1) | instskip(SKIP_1) | instid1(SALU_CYCLE_1)
	v_cmp_le_i32_e32 vcc_lo, s18, v7
	s_or_b32 s25, vcc_lo, s25
	s_and_not1_b32 exec_lo, exec_lo, s25
	s_cbranch_execz .LBB21_23
.LBB21_31:                              ;   Parent Loop BB21_24 Depth=1
                                        ; =>  This Inner Loop Header: Depth=2
	s_and_b32 vcc_lo, exec_lo, s11
	s_cbranch_vccz .LBB21_33
; %bb.32:                               ;   in Loop: Header=BB21_31 Depth=2
	v_add_nc_u32_e32 v7, s14, v6
	s_cbranch_execnz .LBB21_30
	s_branch .LBB21_34
.LBB21_33:                              ;   in Loop: Header=BB21_31 Depth=2
                                        ; implicit-def: $vgpr7
.LBB21_34:                              ;   in Loop: Header=BB21_31 Depth=2
	v_add_nc_u32_e32 v7, s10, v4
	s_delay_alu instid0(VALU_DEP_1)
	v_mad_u32 v7, v7, s18, s8
	s_branch .LBB21_30
.LBB21_35:
	s_and_b32 s8, s23, exec_lo
.LBB21_36:
	s_or_b32 exec_lo, exec_lo, s1
	v_cmp_eq_u32_e32 vcc_lo, 0, v0
	global_wb scope:SCOPE_DEV
	s_wait_loadcnt 0x0
	s_wait_storecnt 0x0
	global_inv scope:SCOPE_DEV
	s_wait_loadcnt 0x0
	s_barrier_signal -1
	s_barrier_wait -1
	s_and_b32 s0, vcc_lo, s0
	s_delay_alu instid0(SALU_CYCLE_1)
	s_and_saveexec_b32 s1, s0
	s_cbranch_execz .LBB21_40
; %bb.37:
	s_add_co_i32 s0, s6, s15
	s_delay_alu instid0(SALU_CYCLE_1)
	v_dual_mov_b32 v0, 1 :: v_dual_mov_b32 v1, s0
	global_store_b32 v1, v0, s[4:5] scale_offset scope:SCOPE_DEV
	s_wait_xcnt 0x0
	s_and_b32 exec_lo, exec_lo, s8
	s_cbranch_execz .LBB21_40
; %bb.38:
	v_mbcnt_lo_u32_b32 v0, exec_lo, 0
	s_delay_alu instid0(VALU_DEP_1)
	v_cmp_eq_u32_e32 vcc_lo, 0, v0
	s_and_b32 exec_lo, exec_lo, vcc_lo
	s_cbranch_execz .LBB21_40
; %bb.39:
	s_add_co_i32 s0, s6, s12
	s_delay_alu instid0(SALU_CYCLE_1)
	v_dual_mov_b32 v0, 0 :: v_dual_mov_b32 v1, s0
	global_atomic_min_i32 v0, v1, s[2:3] scope:SCOPE_DEV
.LBB21_40:
	s_endpgm
	.section	.rodata,"a",@progbits
	.p2align	6, 0x0
	.amdhsa_kernel _ZN9rocsparseL24bsrsm_lower_large_kernelILj256ELj16ELb1EdEEviiPKiS2_PKT2_iPS3_iPiS2_S7_21rocsparse_index_base_20rocsparse_diag_type_20rocsparse_direction_
		.amdhsa_group_segment_fixed_size 0
		.amdhsa_private_segment_fixed_size 0
		.amdhsa_kernarg_size 92
		.amdhsa_user_sgpr_count 2
		.amdhsa_user_sgpr_dispatch_ptr 0
		.amdhsa_user_sgpr_queue_ptr 0
		.amdhsa_user_sgpr_kernarg_segment_ptr 1
		.amdhsa_user_sgpr_dispatch_id 0
		.amdhsa_user_sgpr_kernarg_preload_length 0
		.amdhsa_user_sgpr_kernarg_preload_offset 0
		.amdhsa_user_sgpr_private_segment_size 0
		.amdhsa_wavefront_size32 1
		.amdhsa_uses_dynamic_stack 0
		.amdhsa_enable_private_segment 0
		.amdhsa_system_sgpr_workgroup_id_x 1
		.amdhsa_system_sgpr_workgroup_id_y 0
		.amdhsa_system_sgpr_workgroup_id_z 0
		.amdhsa_system_sgpr_workgroup_info 0
		.amdhsa_system_vgpr_workitem_id 0
		.amdhsa_next_free_vgpr 18
		.amdhsa_next_free_sgpr 36
		.amdhsa_named_barrier_count 0
		.amdhsa_reserve_vcc 1
		.amdhsa_float_round_mode_32 0
		.amdhsa_float_round_mode_16_64 0
		.amdhsa_float_denorm_mode_32 3
		.amdhsa_float_denorm_mode_16_64 3
		.amdhsa_fp16_overflow 0
		.amdhsa_memory_ordered 1
		.amdhsa_forward_progress 1
		.amdhsa_inst_pref_size 14
		.amdhsa_round_robin_scheduling 0
		.amdhsa_exception_fp_ieee_invalid_op 0
		.amdhsa_exception_fp_denorm_src 0
		.amdhsa_exception_fp_ieee_div_zero 0
		.amdhsa_exception_fp_ieee_overflow 0
		.amdhsa_exception_fp_ieee_underflow 0
		.amdhsa_exception_fp_ieee_inexact 0
		.amdhsa_exception_int_div_zero 0
	.end_amdhsa_kernel
	.section	.text._ZN9rocsparseL24bsrsm_lower_large_kernelILj256ELj16ELb1EdEEviiPKiS2_PKT2_iPS3_iPiS2_S7_21rocsparse_index_base_20rocsparse_diag_type_20rocsparse_direction_,"axG",@progbits,_ZN9rocsparseL24bsrsm_lower_large_kernelILj256ELj16ELb1EdEEviiPKiS2_PKT2_iPS3_iPiS2_S7_21rocsparse_index_base_20rocsparse_diag_type_20rocsparse_direction_,comdat
.Lfunc_end21:
	.size	_ZN9rocsparseL24bsrsm_lower_large_kernelILj256ELj16ELb1EdEEviiPKiS2_PKT2_iPS3_iPiS2_S7_21rocsparse_index_base_20rocsparse_diag_type_20rocsparse_direction_, .Lfunc_end21-_ZN9rocsparseL24bsrsm_lower_large_kernelILj256ELj16ELb1EdEEviiPKiS2_PKT2_iPS3_iPiS2_S7_21rocsparse_index_base_20rocsparse_diag_type_20rocsparse_direction_
                                        ; -- End function
	.set _ZN9rocsparseL24bsrsm_lower_large_kernelILj256ELj16ELb1EdEEviiPKiS2_PKT2_iPS3_iPiS2_S7_21rocsparse_index_base_20rocsparse_diag_type_20rocsparse_direction_.num_vgpr, 18
	.set _ZN9rocsparseL24bsrsm_lower_large_kernelILj256ELj16ELb1EdEEviiPKiS2_PKT2_iPS3_iPiS2_S7_21rocsparse_index_base_20rocsparse_diag_type_20rocsparse_direction_.num_agpr, 0
	.set _ZN9rocsparseL24bsrsm_lower_large_kernelILj256ELj16ELb1EdEEviiPKiS2_PKT2_iPS3_iPiS2_S7_21rocsparse_index_base_20rocsparse_diag_type_20rocsparse_direction_.numbered_sgpr, 36
	.set _ZN9rocsparseL24bsrsm_lower_large_kernelILj256ELj16ELb1EdEEviiPKiS2_PKT2_iPS3_iPiS2_S7_21rocsparse_index_base_20rocsparse_diag_type_20rocsparse_direction_.num_named_barrier, 0
	.set _ZN9rocsparseL24bsrsm_lower_large_kernelILj256ELj16ELb1EdEEviiPKiS2_PKT2_iPS3_iPiS2_S7_21rocsparse_index_base_20rocsparse_diag_type_20rocsparse_direction_.private_seg_size, 0
	.set _ZN9rocsparseL24bsrsm_lower_large_kernelILj256ELj16ELb1EdEEviiPKiS2_PKT2_iPS3_iPiS2_S7_21rocsparse_index_base_20rocsparse_diag_type_20rocsparse_direction_.uses_vcc, 1
	.set _ZN9rocsparseL24bsrsm_lower_large_kernelILj256ELj16ELb1EdEEviiPKiS2_PKT2_iPS3_iPiS2_S7_21rocsparse_index_base_20rocsparse_diag_type_20rocsparse_direction_.uses_flat_scratch, 0
	.set _ZN9rocsparseL24bsrsm_lower_large_kernelILj256ELj16ELb1EdEEviiPKiS2_PKT2_iPS3_iPiS2_S7_21rocsparse_index_base_20rocsparse_diag_type_20rocsparse_direction_.has_dyn_sized_stack, 0
	.set _ZN9rocsparseL24bsrsm_lower_large_kernelILj256ELj16ELb1EdEEviiPKiS2_PKT2_iPS3_iPiS2_S7_21rocsparse_index_base_20rocsparse_diag_type_20rocsparse_direction_.has_recursion, 0
	.set _ZN9rocsparseL24bsrsm_lower_large_kernelILj256ELj16ELb1EdEEviiPKiS2_PKT2_iPS3_iPiS2_S7_21rocsparse_index_base_20rocsparse_diag_type_20rocsparse_direction_.has_indirect_call, 0
	.section	.AMDGPU.csdata,"",@progbits
; Kernel info:
; codeLenInByte = 1672
; TotalNumSgprs: 38
; NumVgprs: 18
; ScratchSize: 0
; MemoryBound: 0
; FloatMode: 240
; IeeeMode: 1
; LDSByteSize: 0 bytes/workgroup (compile time only)
; SGPRBlocks: 0
; VGPRBlocks: 1
; NumSGPRsForWavesPerEU: 38
; NumVGPRsForWavesPerEU: 18
; NamedBarCnt: 0
; Occupancy: 16
; WaveLimiterHint : 1
; COMPUTE_PGM_RSRC2:SCRATCH_EN: 0
; COMPUTE_PGM_RSRC2:USER_SGPR: 2
; COMPUTE_PGM_RSRC2:TRAP_HANDLER: 0
; COMPUTE_PGM_RSRC2:TGID_X_EN: 1
; COMPUTE_PGM_RSRC2:TGID_Y_EN: 0
; COMPUTE_PGM_RSRC2:TGID_Z_EN: 0
; COMPUTE_PGM_RSRC2:TIDIG_COMP_CNT: 0
	.section	.text._ZN9rocsparseL24bsrsm_upper_large_kernelILj64ELj16ELb0EdEEviiPKiS2_PKT2_iPS3_iPiS2_S7_21rocsparse_index_base_20rocsparse_diag_type_20rocsparse_direction_,"axG",@progbits,_ZN9rocsparseL24bsrsm_upper_large_kernelILj64ELj16ELb0EdEEviiPKiS2_PKT2_iPS3_iPiS2_S7_21rocsparse_index_base_20rocsparse_diag_type_20rocsparse_direction_,comdat
	.globl	_ZN9rocsparseL24bsrsm_upper_large_kernelILj64ELj16ELb0EdEEviiPKiS2_PKT2_iPS3_iPiS2_S7_21rocsparse_index_base_20rocsparse_diag_type_20rocsparse_direction_ ; -- Begin function _ZN9rocsparseL24bsrsm_upper_large_kernelILj64ELj16ELb0EdEEviiPKiS2_PKT2_iPS3_iPiS2_S7_21rocsparse_index_base_20rocsparse_diag_type_20rocsparse_direction_
	.p2align	8
	.type	_ZN9rocsparseL24bsrsm_upper_large_kernelILj64ELj16ELb0EdEEviiPKiS2_PKT2_iPS3_iPiS2_S7_21rocsparse_index_base_20rocsparse_diag_type_20rocsparse_direction_,@function
_ZN9rocsparseL24bsrsm_upper_large_kernelILj64ELj16ELb0EdEEviiPKiS2_PKT2_iPS3_iPiS2_S7_21rocsparse_index_base_20rocsparse_diag_type_20rocsparse_direction_: ; @_ZN9rocsparseL24bsrsm_upper_large_kernelILj64ELj16ELb0EdEEviiPKiS2_PKT2_iPS3_iPiS2_S7_21rocsparse_index_base_20rocsparse_diag_type_20rocsparse_direction_
; %bb.0:
	s_clause 0x1
	s_load_b64 s[24:25], s[0:1], 0x0
	s_load_b128 s[8:11], s[0:1], 0x8
	s_bfe_u32 s4, ttmp6, 0x4000c
	s_and_b32 s3, ttmp6, 15
	s_add_co_i32 s4, s4, 1
	s_getreg_b32 s5, hwreg(HW_REG_IB_STS2, 6, 4)
	s_mul_i32 s4, ttmp9, s4
	v_dual_lshrrev_b32 v4, 2, v0 :: v_dual_bitop2_b32 v8, 3, v0 bitop3:0x40
	s_add_co_i32 s3, s3, s4
	s_wait_kmcnt 0x0
	s_cvt_f32_u32 s2, s24
	s_sub_co_i32 s6, 0, s24
	s_delay_alu instid0(SALU_CYCLE_2) | instskip(SKIP_1) | instid1(TRANS32_DEP_1)
	v_rcp_iflag_f32_e32 v1, s2
	v_nop
	v_readfirstlane_b32 s2, v1
	s_mul_f32 s2, s2, 0x4f7ffffe
	s_delay_alu instid0(SALU_CYCLE_3) | instskip(NEXT) | instid1(SALU_CYCLE_3)
	s_cvt_u32_f32 s2, s2
	s_mul_i32 s6, s6, s2
	s_delay_alu instid0(SALU_CYCLE_1) | instskip(NEXT) | instid1(SALU_CYCLE_1)
	s_mul_hi_u32 s6, s2, s6
	s_add_co_i32 s2, s2, s6
	s_cmp_eq_u32 s5, 0
	s_load_b128 s[4:7], s[0:1], 0x38
	s_cselect_b32 s3, ttmp9, s3
	s_delay_alu instid0(SALU_CYCLE_1) | instskip(NEXT) | instid1(SALU_CYCLE_1)
	s_mul_hi_u32 s2, s3, s2
	s_mul_i32 s12, s2, s24
	s_add_co_i32 s13, s2, 1
	s_sub_co_i32 s12, s3, s12
	s_delay_alu instid0(SALU_CYCLE_1)
	s_sub_co_i32 s14, s12, s24
	s_cmp_ge_u32 s12, s24
	s_cselect_b32 s2, s13, s2
	s_cselect_b32 s12, s14, s12
	s_add_co_i32 s13, s2, 1
	s_cmp_ge_u32 s12, s24
	s_cselect_b32 s19, s13, s2
	s_delay_alu instid0(SALU_CYCLE_1) | instskip(SKIP_4) | instid1(SALU_CYCLE_1)
	s_mul_i32 s15, s19, s24
	s_lshl_b32 s19, s19, 4
	s_sub_co_i32 s2, s3, s15
	v_or_b32_e32 v1, s19, v4
	s_ashr_i32 s3, s2, 31
	s_lshl_b64 s[12:13], s[2:3], 2
	s_load_b64 s[2:3], s[0:1], 0x48
	s_wait_kmcnt 0x0
	s_add_nc_u64 s[6:7], s[6:7], s[12:13]
	s_load_b96 s[12:14], s[0:1], 0x50
	v_cmp_gt_i32_e32 vcc_lo, s25, v1
	s_load_b32 s6, s[6:7], 0x0
	s_wait_kmcnt 0x0
	s_ashr_i32 s7, s6, 31
	s_delay_alu instid0(SALU_CYCLE_1) | instskip(NEXT) | instid1(SALU_CYCLE_1)
	s_lshl_b64 s[16:17], s[6:7], 2
	s_add_nc_u64 s[8:9], s[8:9], s[16:17]
	s_load_b64 s[26:27], s[8:9], 0x0
	s_clause 0x1
	s_load_b96 s[16:18], s[0:1], 0x18
	s_load_b96 s[20:22], s[0:1], 0x28
	s_wait_xcnt 0x0
	s_not_b32 s0, s12
	s_wait_kmcnt 0x0
	s_add_co_i32 s23, s27, s0
	v_cmp_eq_u32_e64 s0, 0, v0
	s_sub_co_i32 s26, s26, s12
	s_mul_i32 s7, s6, s18
	s_cmp_lt_i32 s23, s26
	s_cbranch_scc1 .LBB22_18
; %bb.1:
	v_mad_u32 v2, s18, s23, v8
	v_cmp_gt_i32_e64 s1, s18, v8
	v_mov_b32_e32 v6, 0
	s_cmp_lg_u32 s14, 0
	s_mul_i32 s29, s22, s18
	s_cselect_b32 s27, -1, 0
	s_and_b32 s1, vcc_lo, s1
	s_mul_i32 s30, s18, s18
	s_lshl_b32 s31, s18, 2
	v_mul_lo_u32 v5, s18, v2
	s_branch .LBB22_3
.LBB22_2:                               ;   in Loop: Header=BB22_3 Depth=1
                                        ; implicit-def: $vgpr5
	s_cbranch_execnz .LBB22_19
.LBB22_3:                               ; =>This Loop Header: Depth=1
                                        ;     Child Loop BB22_7 Depth 2
                                        ;     Child Loop BB22_11 Depth 2
                                        ;       Child Loop BB22_13 Depth 3
	s_wait_xcnt 0x0
	v_mov_b32_e32 v2, s23
	global_load_b32 v2, v2, s[10:11] scale_offset
	s_wait_loadcnt 0x0
	v_readfirstlane_b32 s8, v2
	s_sub_co_i32 s28, s8, s12
	s_delay_alu instid0(SALU_CYCLE_1)
	s_cmp_le_i32 s28, s6
	s_cbranch_scc1 .LBB22_2
; %bb.4:                                ;   in Loop: Header=BB22_3 Depth=1
	s_wait_xcnt 0x0
	s_and_saveexec_b32 s33, s0
	s_cbranch_execz .LBB22_8
; %bb.5:                                ;   in Loop: Header=BB22_3 Depth=1
	s_add_co_i32 s8, s28, s15
	s_delay_alu instid0(SALU_CYCLE_1)
	v_mov_b32_e32 v2, s8
	global_load_b32 v2, v2, s[4:5] scale_offset scope:SCOPE_DEV
	s_wait_loadcnt 0x0
	v_cmp_ne_u32_e32 vcc_lo, 0, v2
	s_cbranch_vccnz .LBB22_8
; %bb.6:                                ;   in Loop: Header=BB22_3 Depth=1
	s_ashr_i32 s9, s8, 31
	s_delay_alu instid0(SALU_CYCLE_1) | instskip(NEXT) | instid1(SALU_CYCLE_1)
	s_lshl_b64 s[8:9], s[8:9], 2
	s_add_nc_u64 s[8:9], s[4:5], s[8:9]
.LBB22_7:                               ;   Parent Loop BB22_3 Depth=1
                                        ; =>  This Inner Loop Header: Depth=2
	global_load_b32 v2, v6, s[8:9] scope:SCOPE_DEV
	s_wait_loadcnt 0x0
	v_cmp_eq_u32_e32 vcc_lo, 0, v2
	s_cbranch_vccnz .LBB22_7
.LBB22_8:                               ;   in Loop: Header=BB22_3 Depth=1
	s_wait_xcnt 0x0
	s_or_b32 exec_lo, exec_lo, s33
	global_wb scope:SCOPE_DEV
	s_wait_storecnt 0x0
	global_inv scope:SCOPE_DEV
	s_wait_loadcnt 0x0
	s_barrier_signal -1
	s_barrier_wait -1
	s_and_saveexec_b32 s8, s1
	s_cbranch_execz .LBB22_17
; %bb.9:                                ;   in Loop: Header=BB22_3 Depth=1
	v_mad_u32 v7, s29, s28, v1
	v_dual_mov_b32 v9, v5 :: v_dual_mov_b32 v10, v8
	s_mul_i32 s9, s23, s18
	s_mov_b32 s33, 0
	s_branch .LBB22_11
.LBB22_10:                              ;   in Loop: Header=BB22_11 Depth=2
	v_dual_add_nc_u32 v11, s7, v10 :: v_dual_add_nc_u32 v10, 4, v10
	v_add_nc_u32_e32 v9, s31, v9
	s_delay_alu instid0(VALU_DEP_2) | instskip(NEXT) | instid1(VALU_DEP_3)
	v_mad_u32 v11, v11, s22, v1
	v_cmp_le_i32_e32 vcc_lo, s18, v10
	s_or_b32 s33, vcc_lo, s33
	global_load_b64 v[12:13], v11, s[20:21] scale_offset
	s_wait_loadcnt 0x0
	v_add_f64_e64 v[2:3], v[12:13], -v[2:3]
	global_store_b64 v11, v[2:3], s[20:21] scale_offset
	s_wait_xcnt 0x0
	s_and_not1_b32 exec_lo, exec_lo, s33
	s_cbranch_execz .LBB22_17
.LBB22_11:                              ;   Parent Loop BB22_3 Depth=1
                                        ; =>  This Loop Header: Depth=2
                                        ;       Child Loop BB22_13 Depth 3
	v_mov_b64_e32 v[2:3], 0
	s_delay_alu instid0(VALU_DEP_3)
	v_mov_b32_e32 v11, v7
	s_mov_b32 s34, 0
	s_branch .LBB22_13
.LBB22_12:                              ;   in Loop: Header=BB22_13 Depth=3
	global_load_b64 v[14:15], v12, s[16:17] scale_offset
	global_load_b64 v[16:17], v11, s[20:21] scale_offset
	s_wait_xcnt 0x0
	v_add_nc_u32_e32 v11, s22, v11
	s_add_co_i32 s34, s34, 1
	s_delay_alu instid0(SALU_CYCLE_1)
	s_cmp_eq_u32 s18, s34
	s_wait_loadcnt 0x0
	v_fmac_f64_e32 v[2:3], v[14:15], v[16:17]
	s_cbranch_scc1 .LBB22_10
.LBB22_13:                              ;   Parent Loop BB22_3 Depth=1
                                        ;     Parent Loop BB22_11 Depth=2
                                        ; =>    This Inner Loop Header: Depth=3
	s_and_b32 vcc_lo, exec_lo, s27
	s_cbranch_vccz .LBB22_15
; %bb.14:                               ;   in Loop: Header=BB22_13 Depth=3
	s_add_co_i32 s35, s34, s9
	s_delay_alu instid0(SALU_CYCLE_1)
	v_mad_u32 v12, s35, s18, v10
	s_cbranch_execnz .LBB22_12
	s_branch .LBB22_16
.LBB22_15:                              ;   in Loop: Header=BB22_13 Depth=3
                                        ; implicit-def: $vgpr12
.LBB22_16:                              ;   in Loop: Header=BB22_13 Depth=3
	v_add_nc_u32_e32 v12, s34, v9
	s_branch .LBB22_12
.LBB22_17:                              ;   in Loop: Header=BB22_3 Depth=1
	s_or_b32 exec_lo, exec_lo, s8
	s_add_co_i32 s9, s23, -1
	s_cmp_le_i32 s23, s26
	v_subrev_nc_u32_e32 v5, s30, v5
	s_cselect_b32 s8, -1, 0
	s_mov_b32 s23, s9
	s_and_b32 vcc_lo, exec_lo, s8
	s_cbranch_vccz .LBB22_3
	s_branch .LBB22_19
.LBB22_18:
	s_mov_b32 s28, s24
.LBB22_19:
	s_cmp_lt_i32 s6, s24
	v_cmp_gt_i32_e32 vcc_lo, s25, v1
	s_cselect_b32 s0, -1, 0
	s_cmp_eq_u32 s6, s28
	s_cselect_b32 s1, -1, 0
	s_delay_alu instid0(SALU_CYCLE_1) | instskip(SKIP_2) | instid1(SALU_CYCLE_1)
	s_and_b32 s1, vcc_lo, s1
	s_cmp_gt_i32 s18, 0
	s_cselect_b32 s8, -1, 0
	s_and_b32 s1, s1, s8
	s_mov_b32 s8, 0
	s_and_b32 s9, s1, s0
	s_wait_xcnt 0x0
	s_and_saveexec_b32 s1, s9
	s_cbranch_execz .LBB22_35
; %bb.20:
	v_add_nc_u32_e32 v2, s7, v8
	s_cmp_eq_u32 s13, 0
	s_mov_b32 s10, 0
	s_cselect_b32 s8, -1, 0
	s_cmp_lg_u32 s14, 0
	v_mul_lo_u32 v2, s22, v2
	s_cselect_b32 s9, -1, 0
	s_add_co_i32 s11, s23, 1
	s_delay_alu instid0(SALU_CYCLE_1) | instskip(SKIP_4) | instid1(VALU_DEP_1)
	s_mul_i32 s13, s18, s11
	s_mul_i32 s11, s23, s18
	s_add_co_i32 s14, s13, -1
	s_lshl_b32 s13, s22, 2
	s_mul_i32 s14, s18, s14
	v_add3_u32 v9, v4, v2, s19
	s_mov_b32 s19, s18
	v_mov_b64_e32 v[4:5], 1.0
	s_and_not1_b32 vcc_lo, exec_lo, s8
	s_add_co_i32 s23, s19, -1
	s_cbranch_vccnz .LBB22_22
.LBB22_21:
	s_add_co_i32 s24, s23, s11
	s_delay_alu instid0(SALU_CYCLE_1) | instskip(NEXT) | instid1(SALU_CYCLE_1)
	s_mul_i32 s24, s24, s18
	s_add_co_i32 s24, s24, s23
	s_wait_loadcnt 0x0
	v_mov_b32_e32 v2, s24
	global_load_b64 v[4:5], v2, s[16:17] scale_offset
.LBB22_22:                              ; =>This Loop Header: Depth=1
                                        ;     Child Loop BB22_27 Depth 2
	s_add_co_i32 s24, s23, s7
	s_wait_loadcnt 0x0
	s_delay_alu instid0(VALU_DEP_1)
	v_cmp_eq_f64_e32 vcc_lo, 0, v[4:5]
	v_mad_u32 v6, s24, s22, v1
	global_load_b64 v[2:3], v6, s[20:21] scale_offset
	s_cbranch_vccnz .LBB22_24
; %bb.23:                               ;   in Loop: Header=BB22_22 Depth=1
	s_wait_loadcnt 0x0
	v_div_scale_f64 v[10:11], null, v[4:5], v[4:5], v[2:3]
	v_ashrrev_i32_e32 v7, 31, v6
	s_delay_alu instid0(VALU_DEP_2) | instskip(SKIP_1) | instid1(TRANS32_DEP_1)
	v_rcp_f64_e32 v[12:13], v[10:11]
	v_nop
	v_fma_f64 v[14:15], -v[10:11], v[12:13], 1.0
	s_delay_alu instid0(VALU_DEP_1) | instskip(NEXT) | instid1(VALU_DEP_1)
	v_fmac_f64_e32 v[12:13], v[12:13], v[14:15]
	v_fma_f64 v[14:15], -v[10:11], v[12:13], 1.0
	s_delay_alu instid0(VALU_DEP_1) | instskip(SKIP_1) | instid1(VALU_DEP_1)
	v_fmac_f64_e32 v[12:13], v[12:13], v[14:15]
	v_div_scale_f64 v[14:15], vcc_lo, v[2:3], v[4:5], v[2:3]
	v_mul_f64_e32 v[16:17], v[14:15], v[12:13]
	s_delay_alu instid0(VALU_DEP_1) | instskip(NEXT) | instid1(VALU_DEP_1)
	v_fma_f64 v[10:11], -v[10:11], v[16:17], v[14:15]
	v_div_fmas_f64 v[10:11], v[10:11], v[12:13], v[16:17]
	s_delay_alu instid0(VALU_DEP_1)
	v_div_fixup_f64 v[2:3], v[10:11], v[4:5], v[2:3]
	v_lshl_add_u64 v[4:5], v[6:7], 3, s[20:21]
	global_store_b64 v[4:5], v[2:3], off
	s_mov_b32 s24, exec_lo
	s_wait_xcnt 0x0
	v_cmpx_gt_i32_e64 s23, v8
	s_cbranch_execnz .LBB22_25
	s_branch .LBB22_31
.LBB22_24:                              ;   in Loop: Header=BB22_22 Depth=1
	s_mov_b32 s10, -1
	s_mov_b32 s24, exec_lo
	s_wait_xcnt 0x0
	v_cmpx_gt_i32_e64 s23, v8
	s_cbranch_execz .LBB22_31
.LBB22_25:                              ;   in Loop: Header=BB22_22 Depth=1
	v_dual_mov_b32 v4, v9 :: v_dual_mov_b32 v5, v8
	s_mov_b32 s25, 0
	s_branch .LBB22_27
.LBB22_26:                              ;   in Loop: Header=BB22_27 Depth=2
	global_load_b64 v[10:11], v6, s[16:17] scale_offset
	global_load_b64 v[12:13], v4, s[20:21] scale_offset
	v_add_nc_u32_e32 v5, 4, v5
	s_delay_alu instid0(VALU_DEP_1)
	v_cmp_le_i32_e32 vcc_lo, s23, v5
	s_or_b32 s25, vcc_lo, s25
	s_wait_loadcnt 0x0
	s_wait_xcnt 0x1
	v_fma_f64 v[6:7], -v[2:3], v[10:11], v[12:13]
	global_store_b64 v4, v[6:7], s[20:21] scale_offset
	s_wait_xcnt 0x0
	v_add_nc_u32_e32 v4, s13, v4
	s_and_not1_b32 exec_lo, exec_lo, s25
	s_cbranch_execz .LBB22_31
.LBB22_27:                              ;   Parent Loop BB22_22 Depth=1
                                        ; =>  This Inner Loop Header: Depth=2
	s_and_b32 vcc_lo, exec_lo, s9
	s_cbranch_vccz .LBB22_29
; %bb.28:                               ;   in Loop: Header=BB22_27 Depth=2
	v_add_nc_u32_e32 v6, s14, v5
	s_cbranch_execnz .LBB22_26
	s_branch .LBB22_30
.LBB22_29:                              ;   in Loop: Header=BB22_27 Depth=2
                                        ; implicit-def: $vgpr6
.LBB22_30:                              ;   in Loop: Header=BB22_27 Depth=2
	v_add_nc_u32_e32 v6, s11, v5
	s_delay_alu instid0(VALU_DEP_1)
	v_mad_u32 v6, v6, s18, s23
	s_branch .LBB22_26
.LBB22_31:                              ;   in Loop: Header=BB22_22 Depth=1
	s_or_b32 exec_lo, exec_lo, s24
; %bb.32:                               ;   in Loop: Header=BB22_22 Depth=1
	s_sub_co_i32 s14, s14, s18
	s_cmp_lt_i32 s19, 2
	s_cbranch_scc1 .LBB22_34
; %bb.33:                               ;   in Loop: Header=BB22_22 Depth=1
	s_mov_b32 s19, s23
	v_mov_b64_e32 v[4:5], 1.0
	s_and_not1_b32 vcc_lo, exec_lo, s8
	s_add_co_i32 s23, s19, -1
	s_cbranch_vccnz .LBB22_22
	s_branch .LBB22_21
.LBB22_34:
	s_and_b32 s8, s10, exec_lo
.LBB22_35:
	s_or_b32 exec_lo, exec_lo, s1
	v_cmp_eq_u32_e32 vcc_lo, 0, v0
	global_wb scope:SCOPE_DEV
	s_wait_loadcnt 0x0
	s_wait_storecnt 0x0
	global_inv scope:SCOPE_DEV
	s_wait_loadcnt 0x0
	s_barrier_signal -1
	s_barrier_wait -1
	s_and_b32 s0, vcc_lo, s0
	s_delay_alu instid0(SALU_CYCLE_1)
	s_and_saveexec_b32 s1, s0
	s_cbranch_execz .LBB22_39
; %bb.36:
	s_add_co_i32 s0, s6, s15
	s_delay_alu instid0(SALU_CYCLE_1)
	v_dual_mov_b32 v0, 1 :: v_dual_mov_b32 v1, s0
	global_store_b32 v1, v0, s[4:5] scale_offset scope:SCOPE_DEV
	s_wait_xcnt 0x0
	s_and_b32 exec_lo, exec_lo, s8
	s_cbranch_execz .LBB22_39
; %bb.37:
	v_mbcnt_lo_u32_b32 v0, exec_lo, 0
	s_delay_alu instid0(VALU_DEP_1)
	v_cmp_eq_u32_e32 vcc_lo, 0, v0
	s_and_b32 exec_lo, exec_lo, vcc_lo
	s_cbranch_execz .LBB22_39
; %bb.38:
	s_add_co_i32 s0, s6, s12
	s_delay_alu instid0(SALU_CYCLE_1)
	v_dual_mov_b32 v0, 0 :: v_dual_mov_b32 v1, s0
	global_atomic_min_i32 v0, v1, s[2:3] scope:SCOPE_DEV
.LBB22_39:
	s_endpgm
	.section	.rodata,"a",@progbits
	.p2align	6, 0x0
	.amdhsa_kernel _ZN9rocsparseL24bsrsm_upper_large_kernelILj64ELj16ELb0EdEEviiPKiS2_PKT2_iPS3_iPiS2_S7_21rocsparse_index_base_20rocsparse_diag_type_20rocsparse_direction_
		.amdhsa_group_segment_fixed_size 0
		.amdhsa_private_segment_fixed_size 0
		.amdhsa_kernarg_size 92
		.amdhsa_user_sgpr_count 2
		.amdhsa_user_sgpr_dispatch_ptr 0
		.amdhsa_user_sgpr_queue_ptr 0
		.amdhsa_user_sgpr_kernarg_segment_ptr 1
		.amdhsa_user_sgpr_dispatch_id 0
		.amdhsa_user_sgpr_kernarg_preload_length 0
		.amdhsa_user_sgpr_kernarg_preload_offset 0
		.amdhsa_user_sgpr_private_segment_size 0
		.amdhsa_wavefront_size32 1
		.amdhsa_uses_dynamic_stack 0
		.amdhsa_enable_private_segment 0
		.amdhsa_system_sgpr_workgroup_id_x 1
		.amdhsa_system_sgpr_workgroup_id_y 0
		.amdhsa_system_sgpr_workgroup_id_z 0
		.amdhsa_system_sgpr_workgroup_info 0
		.amdhsa_system_vgpr_workitem_id 0
		.amdhsa_next_free_vgpr 18
		.amdhsa_next_free_sgpr 36
		.amdhsa_named_barrier_count 0
		.amdhsa_reserve_vcc 1
		.amdhsa_float_round_mode_32 0
		.amdhsa_float_round_mode_16_64 0
		.amdhsa_float_denorm_mode_32 3
		.amdhsa_float_denorm_mode_16_64 3
		.amdhsa_fp16_overflow 0
		.amdhsa_memory_ordered 1
		.amdhsa_forward_progress 1
		.amdhsa_inst_pref_size 13
		.amdhsa_round_robin_scheduling 0
		.amdhsa_exception_fp_ieee_invalid_op 0
		.amdhsa_exception_fp_denorm_src 0
		.amdhsa_exception_fp_ieee_div_zero 0
		.amdhsa_exception_fp_ieee_overflow 0
		.amdhsa_exception_fp_ieee_underflow 0
		.amdhsa_exception_fp_ieee_inexact 0
		.amdhsa_exception_int_div_zero 0
	.end_amdhsa_kernel
	.section	.text._ZN9rocsparseL24bsrsm_upper_large_kernelILj64ELj16ELb0EdEEviiPKiS2_PKT2_iPS3_iPiS2_S7_21rocsparse_index_base_20rocsparse_diag_type_20rocsparse_direction_,"axG",@progbits,_ZN9rocsparseL24bsrsm_upper_large_kernelILj64ELj16ELb0EdEEviiPKiS2_PKT2_iPS3_iPiS2_S7_21rocsparse_index_base_20rocsparse_diag_type_20rocsparse_direction_,comdat
.Lfunc_end22:
	.size	_ZN9rocsparseL24bsrsm_upper_large_kernelILj64ELj16ELb0EdEEviiPKiS2_PKT2_iPS3_iPiS2_S7_21rocsparse_index_base_20rocsparse_diag_type_20rocsparse_direction_, .Lfunc_end22-_ZN9rocsparseL24bsrsm_upper_large_kernelILj64ELj16ELb0EdEEviiPKiS2_PKT2_iPS3_iPiS2_S7_21rocsparse_index_base_20rocsparse_diag_type_20rocsparse_direction_
                                        ; -- End function
	.set _ZN9rocsparseL24bsrsm_upper_large_kernelILj64ELj16ELb0EdEEviiPKiS2_PKT2_iPS3_iPiS2_S7_21rocsparse_index_base_20rocsparse_diag_type_20rocsparse_direction_.num_vgpr, 18
	.set _ZN9rocsparseL24bsrsm_upper_large_kernelILj64ELj16ELb0EdEEviiPKiS2_PKT2_iPS3_iPiS2_S7_21rocsparse_index_base_20rocsparse_diag_type_20rocsparse_direction_.num_agpr, 0
	.set _ZN9rocsparseL24bsrsm_upper_large_kernelILj64ELj16ELb0EdEEviiPKiS2_PKT2_iPS3_iPiS2_S7_21rocsparse_index_base_20rocsparse_diag_type_20rocsparse_direction_.numbered_sgpr, 36
	.set _ZN9rocsparseL24bsrsm_upper_large_kernelILj64ELj16ELb0EdEEviiPKiS2_PKT2_iPS3_iPiS2_S7_21rocsparse_index_base_20rocsparse_diag_type_20rocsparse_direction_.num_named_barrier, 0
	.set _ZN9rocsparseL24bsrsm_upper_large_kernelILj64ELj16ELb0EdEEviiPKiS2_PKT2_iPS3_iPiS2_S7_21rocsparse_index_base_20rocsparse_diag_type_20rocsparse_direction_.private_seg_size, 0
	.set _ZN9rocsparseL24bsrsm_upper_large_kernelILj64ELj16ELb0EdEEviiPKiS2_PKT2_iPS3_iPiS2_S7_21rocsparse_index_base_20rocsparse_diag_type_20rocsparse_direction_.uses_vcc, 1
	.set _ZN9rocsparseL24bsrsm_upper_large_kernelILj64ELj16ELb0EdEEviiPKiS2_PKT2_iPS3_iPiS2_S7_21rocsparse_index_base_20rocsparse_diag_type_20rocsparse_direction_.uses_flat_scratch, 0
	.set _ZN9rocsparseL24bsrsm_upper_large_kernelILj64ELj16ELb0EdEEviiPKiS2_PKT2_iPS3_iPiS2_S7_21rocsparse_index_base_20rocsparse_diag_type_20rocsparse_direction_.has_dyn_sized_stack, 0
	.set _ZN9rocsparseL24bsrsm_upper_large_kernelILj64ELj16ELb0EdEEviiPKiS2_PKT2_iPS3_iPiS2_S7_21rocsparse_index_base_20rocsparse_diag_type_20rocsparse_direction_.has_recursion, 0
	.set _ZN9rocsparseL24bsrsm_upper_large_kernelILj64ELj16ELb0EdEEviiPKiS2_PKT2_iPS3_iPiS2_S7_21rocsparse_index_base_20rocsparse_diag_type_20rocsparse_direction_.has_indirect_call, 0
	.section	.AMDGPU.csdata,"",@progbits
; Kernel info:
; codeLenInByte = 1600
; TotalNumSgprs: 38
; NumVgprs: 18
; ScratchSize: 0
; MemoryBound: 0
; FloatMode: 240
; IeeeMode: 1
; LDSByteSize: 0 bytes/workgroup (compile time only)
; SGPRBlocks: 0
; VGPRBlocks: 1
; NumSGPRsForWavesPerEU: 38
; NumVGPRsForWavesPerEU: 18
; NamedBarCnt: 0
; Occupancy: 16
; WaveLimiterHint : 1
; COMPUTE_PGM_RSRC2:SCRATCH_EN: 0
; COMPUTE_PGM_RSRC2:USER_SGPR: 2
; COMPUTE_PGM_RSRC2:TRAP_HANDLER: 0
; COMPUTE_PGM_RSRC2:TGID_X_EN: 1
; COMPUTE_PGM_RSRC2:TGID_Y_EN: 0
; COMPUTE_PGM_RSRC2:TGID_Z_EN: 0
; COMPUTE_PGM_RSRC2:TIDIG_COMP_CNT: 0
	.section	.text._ZN9rocsparseL24bsrsm_lower_large_kernelILj64ELj16ELb0EdEEviiPKiS2_PKT2_iPS3_iPiS2_S7_21rocsparse_index_base_20rocsparse_diag_type_20rocsparse_direction_,"axG",@progbits,_ZN9rocsparseL24bsrsm_lower_large_kernelILj64ELj16ELb0EdEEviiPKiS2_PKT2_iPS3_iPiS2_S7_21rocsparse_index_base_20rocsparse_diag_type_20rocsparse_direction_,comdat
	.globl	_ZN9rocsparseL24bsrsm_lower_large_kernelILj64ELj16ELb0EdEEviiPKiS2_PKT2_iPS3_iPiS2_S7_21rocsparse_index_base_20rocsparse_diag_type_20rocsparse_direction_ ; -- Begin function _ZN9rocsparseL24bsrsm_lower_large_kernelILj64ELj16ELb0EdEEviiPKiS2_PKT2_iPS3_iPiS2_S7_21rocsparse_index_base_20rocsparse_diag_type_20rocsparse_direction_
	.p2align	8
	.type	_ZN9rocsparseL24bsrsm_lower_large_kernelILj64ELj16ELb0EdEEviiPKiS2_PKT2_iPS3_iPiS2_S7_21rocsparse_index_base_20rocsparse_diag_type_20rocsparse_direction_,@function
_ZN9rocsparseL24bsrsm_lower_large_kernelILj64ELj16ELb0EdEEviiPKiS2_PKT2_iPS3_iPiS2_S7_21rocsparse_index_base_20rocsparse_diag_type_20rocsparse_direction_: ; @_ZN9rocsparseL24bsrsm_lower_large_kernelILj64ELj16ELb0EdEEviiPKiS2_PKT2_iPS3_iPiS2_S7_21rocsparse_index_base_20rocsparse_diag_type_20rocsparse_direction_
; %bb.0:
	s_clause 0x1
	s_load_b64 s[24:25], s[0:1], 0x0
	s_load_b128 s[8:11], s[0:1], 0x8
	s_bfe_u32 s4, ttmp6, 0x4000c
	s_and_b32 s3, ttmp6, 15
	s_add_co_i32 s4, s4, 1
	s_getreg_b32 s5, hwreg(HW_REG_IB_STS2, 6, 4)
	s_mul_i32 s4, ttmp9, s4
	v_dual_lshrrev_b32 v4, 2, v0 :: v_dual_bitop2_b32 v5, 3, v0 bitop3:0x40
	s_add_co_i32 s3, s3, s4
	s_wait_kmcnt 0x0
	s_cvt_f32_u32 s2, s24
	s_sub_co_i32 s6, 0, s24
	s_delay_alu instid0(SALU_CYCLE_2) | instskip(SKIP_1) | instid1(TRANS32_DEP_1)
	v_rcp_iflag_f32_e32 v1, s2
	v_nop
	v_readfirstlane_b32 s2, v1
	s_mul_f32 s2, s2, 0x4f7ffffe
	s_delay_alu instid0(SALU_CYCLE_3) | instskip(NEXT) | instid1(SALU_CYCLE_3)
	s_cvt_u32_f32 s2, s2
	s_mul_i32 s6, s6, s2
	s_delay_alu instid0(SALU_CYCLE_1) | instskip(NEXT) | instid1(SALU_CYCLE_1)
	s_mul_hi_u32 s6, s2, s6
	s_add_co_i32 s2, s2, s6
	s_cmp_eq_u32 s5, 0
	s_load_b128 s[4:7], s[0:1], 0x38
	s_cselect_b32 s3, ttmp9, s3
	s_delay_alu instid0(SALU_CYCLE_1) | instskip(NEXT) | instid1(SALU_CYCLE_1)
	s_mul_hi_u32 s2, s3, s2
	s_mul_i32 s12, s2, s24
	s_add_co_i32 s13, s2, 1
	s_sub_co_i32 s12, s3, s12
	s_delay_alu instid0(SALU_CYCLE_1)
	s_sub_co_i32 s14, s12, s24
	s_cmp_ge_u32 s12, s24
	s_cselect_b32 s2, s13, s2
	s_cselect_b32 s12, s14, s12
	s_add_co_i32 s13, s2, 1
	s_cmp_ge_u32 s12, s24
	s_cselect_b32 s19, s13, s2
	s_delay_alu instid0(SALU_CYCLE_1) | instskip(SKIP_4) | instid1(SALU_CYCLE_1)
	s_mul_i32 s15, s19, s24
	s_lshl_b32 s19, s19, 4
	s_sub_co_i32 s2, s3, s15
	v_or_b32_e32 v1, s19, v4
	s_ashr_i32 s3, s2, 31
	s_lshl_b64 s[12:13], s[2:3], 2
	s_load_b64 s[2:3], s[0:1], 0x48
	s_wait_kmcnt 0x0
	s_add_nc_u64 s[6:7], s[6:7], s[12:13]
	v_cmp_gt_i32_e32 vcc_lo, s25, v1
	s_load_b32 s6, s[6:7], 0x0
	s_wait_kmcnt 0x0
	s_ashr_i32 s7, s6, 31
	s_delay_alu instid0(SALU_CYCLE_1) | instskip(NEXT) | instid1(SALU_CYCLE_1)
	s_lshl_b64 s[12:13], s[6:7], 2
	s_add_nc_u64 s[26:27], s[8:9], s[12:13]
	s_load_b96 s[12:14], s[0:1], 0x50
	s_load_b64 s[8:9], s[26:27], 0x0
	s_clause 0x1
	s_load_b96 s[16:18], s[0:1], 0x18
	s_load_b96 s[20:22], s[0:1], 0x28
	s_wait_xcnt 0x0
	v_cmp_eq_u32_e64 s0, 0, v0
	s_wait_kmcnt 0x0
	s_sub_co_i32 s23, s8, s12
	s_cmp_ge_i32 s8, s9
	s_mul_i32 s7, s6, s18
	s_mul_i32 s26, s18, s18
	s_cbranch_scc1 .LBB23_18
; %bb.1:
	v_mad_u32 v2, s18, s23, v5
	v_cmp_gt_i32_e64 s1, s18, v5
	s_sub_co_i32 s27, s9, s12
	v_mov_b32_e32 v7, 0
	s_cmp_lg_u32 s14, 0
	s_mul_i32 s30, s22, s18
	s_cselect_b32 s28, -1, 0
	s_and_b32 s29, vcc_lo, s1
	s_lshl_b32 s31, s18, 2
	v_mul_lo_u32 v6, s18, v2
	s_branch .LBB23_3
.LBB23_2:                               ;   in Loop: Header=BB23_3 Depth=1
                                        ; implicit-def: $vgpr6
	s_and_b32 vcc_lo, exec_lo, s8
	s_cbranch_vccnz .LBB23_19
.LBB23_3:                               ; =>This Loop Header: Depth=1
                                        ;     Child Loop BB23_7 Depth 2
                                        ;     Child Loop BB23_11 Depth 2
                                        ;       Child Loop BB23_13 Depth 3
	s_wait_xcnt 0x0
	v_mov_b32_e32 v2, s23
	s_mov_b32 s8, -1
	global_load_b32 v2, v2, s[10:11] scale_offset
	s_wait_loadcnt 0x0
	v_readfirstlane_b32 s1, v2
	s_sub_co_i32 s1, s1, s12
	s_delay_alu instid0(SALU_CYCLE_1)
	s_cmp_ge_i32 s1, s6
	s_cbranch_scc1 .LBB23_2
; %bb.4:                                ;   in Loop: Header=BB23_3 Depth=1
	s_wait_xcnt 0x0
	s_and_saveexec_b32 s33, s0
	s_cbranch_execz .LBB23_8
; %bb.5:                                ;   in Loop: Header=BB23_3 Depth=1
	s_add_co_i32 s8, s1, s15
	s_delay_alu instid0(SALU_CYCLE_1)
	v_mov_b32_e32 v2, s8
	global_load_b32 v2, v2, s[4:5] scale_offset scope:SCOPE_DEV
	s_wait_loadcnt 0x0
	v_cmp_ne_u32_e32 vcc_lo, 0, v2
	s_cbranch_vccnz .LBB23_8
; %bb.6:                                ;   in Loop: Header=BB23_3 Depth=1
	s_ashr_i32 s9, s8, 31
	s_delay_alu instid0(SALU_CYCLE_1) | instskip(NEXT) | instid1(SALU_CYCLE_1)
	s_lshl_b64 s[8:9], s[8:9], 2
	s_add_nc_u64 s[8:9], s[4:5], s[8:9]
.LBB23_7:                               ;   Parent Loop BB23_3 Depth=1
                                        ; =>  This Inner Loop Header: Depth=2
	global_load_b32 v2, v7, s[8:9] scope:SCOPE_DEV
	s_wait_loadcnt 0x0
	v_cmp_eq_u32_e32 vcc_lo, 0, v2
	s_cbranch_vccnz .LBB23_7
.LBB23_8:                               ;   in Loop: Header=BB23_3 Depth=1
	s_wait_xcnt 0x0
	s_or_b32 exec_lo, exec_lo, s33
	global_wb scope:SCOPE_DEV
	s_wait_storecnt 0x0
	global_inv scope:SCOPE_DEV
	s_wait_loadcnt 0x0
	s_barrier_signal -1
	s_barrier_wait -1
	s_and_saveexec_b32 s8, s29
	s_cbranch_execz .LBB23_17
; %bb.9:                                ;   in Loop: Header=BB23_3 Depth=1
	v_mad_u32 v8, s30, s1, v1
	v_dual_mov_b32 v9, v6 :: v_dual_mov_b32 v10, v5
	s_mul_i32 s9, s23, s18
	s_mov_b32 s33, 0
	s_branch .LBB23_11
.LBB23_10:                              ;   in Loop: Header=BB23_11 Depth=2
	v_dual_add_nc_u32 v11, s7, v10 :: v_dual_add_nc_u32 v10, 4, v10
	v_add_nc_u32_e32 v9, s31, v9
	s_delay_alu instid0(VALU_DEP_2) | instskip(NEXT) | instid1(VALU_DEP_3)
	v_mad_u32 v11, v11, s22, v1
	v_cmp_le_i32_e32 vcc_lo, s18, v10
	s_or_b32 s33, vcc_lo, s33
	global_load_b64 v[12:13], v11, s[20:21] scale_offset
	s_wait_loadcnt 0x0
	v_add_f64_e64 v[2:3], v[12:13], -v[2:3]
	global_store_b64 v11, v[2:3], s[20:21] scale_offset
	s_wait_xcnt 0x0
	s_and_not1_b32 exec_lo, exec_lo, s33
	s_cbranch_execz .LBB23_17
.LBB23_11:                              ;   Parent Loop BB23_3 Depth=1
                                        ; =>  This Loop Header: Depth=2
                                        ;       Child Loop BB23_13 Depth 3
	v_mov_b64_e32 v[2:3], 0
	s_delay_alu instid0(VALU_DEP_3)
	v_mov_b32_e32 v11, v8
	s_mov_b32 s34, 0
	s_branch .LBB23_13
.LBB23_12:                              ;   in Loop: Header=BB23_13 Depth=3
	global_load_b64 v[14:15], v12, s[16:17] scale_offset
	global_load_b64 v[16:17], v11, s[20:21] scale_offset
	s_wait_xcnt 0x0
	v_add_nc_u32_e32 v11, s22, v11
	s_add_co_i32 s34, s34, 1
	s_delay_alu instid0(SALU_CYCLE_1)
	s_cmp_eq_u32 s18, s34
	s_wait_loadcnt 0x0
	v_fmac_f64_e32 v[2:3], v[14:15], v[16:17]
	s_cbranch_scc1 .LBB23_10
.LBB23_13:                              ;   Parent Loop BB23_3 Depth=1
                                        ;     Parent Loop BB23_11 Depth=2
                                        ; =>    This Inner Loop Header: Depth=3
	s_and_b32 vcc_lo, exec_lo, s28
	s_cbranch_vccz .LBB23_15
; %bb.14:                               ;   in Loop: Header=BB23_13 Depth=3
	s_add_co_i32 s35, s34, s9
	s_delay_alu instid0(SALU_CYCLE_1)
	v_mad_u32 v12, s35, s18, v10
	s_cbranch_execnz .LBB23_12
	s_branch .LBB23_16
.LBB23_15:                              ;   in Loop: Header=BB23_13 Depth=3
                                        ; implicit-def: $vgpr12
.LBB23_16:                              ;   in Loop: Header=BB23_13 Depth=3
	v_add_nc_u32_e32 v12, s34, v9
	s_branch .LBB23_12
.LBB23_17:                              ;   in Loop: Header=BB23_3 Depth=1
	s_or_b32 exec_lo, exec_lo, s8
	s_add_co_i32 s23, s23, 1
	v_add_nc_u32_e32 v6, s26, v6
	s_cmp_ge_i32 s23, s27
	s_cselect_b32 s8, -1, 0
	s_delay_alu instid0(SALU_CYCLE_1)
	s_and_b32 vcc_lo, exec_lo, s8
	s_cbranch_vccz .LBB23_3
	s_branch .LBB23_19
.LBB23_18:
	s_mov_b32 s1, s24
.LBB23_19:
	s_cmp_lt_i32 s6, s24
	v_cmp_gt_i32_e32 vcc_lo, s25, v1
	s_cselect_b32 s0, -1, 0
	s_cmp_eq_u32 s6, s1
	s_cselect_b32 s1, -1, 0
	s_delay_alu instid0(SALU_CYCLE_1) | instskip(SKIP_2) | instid1(SALU_CYCLE_1)
	s_and_b32 s1, vcc_lo, s1
	s_cmp_gt_i32 s18, 0
	s_cselect_b32 s8, -1, 0
	s_and_b32 s1, s1, s8
	s_mov_b32 s8, 0
	s_and_b32 s9, s1, s0
	s_wait_xcnt 0x0
	s_and_saveexec_b32 s1, s9
	s_cbranch_execz .LBB23_34
; %bb.20:
	v_dual_add_nc_u32 v2, s7, v5 :: v_dual_add_nc_u32 v8, 1, v5
	s_cmp_eq_u32 s13, 0
	s_mul_i32 s10, s23, s18
	s_cselect_b32 s9, -1, 0
	s_delay_alu instid0(VALU_DEP_1)
	v_mad_u32 v2, s22, v2, s22
	s_cmp_lg_u32 s14, 0
	s_mul_i32 s14, s23, s26
	s_cselect_b32 s11, -1, 0
	s_lshl_b32 s13, s22, 2
	s_mov_b32 s23, 0
	s_delay_alu instid0(VALU_DEP_1)
	v_add3_u32 v9, v4, v2, s19
	s_add_co_i32 s19, s18, 1
	s_branch .LBB23_22
.LBB23_21:                              ;   in Loop: Header=BB23_22 Depth=1
	s_or_b32 exec_lo, exec_lo, s24
	v_add_nc_u32_e32 v9, s22, v9
	s_add_co_i32 s8, s8, 1
	s_add_co_i32 s14, s14, s19
	s_cmp_eq_u32 s8, s18
	s_cbranch_scc1 .LBB23_33
.LBB23_22:                              ; =>This Loop Header: Depth=1
                                        ;     Child Loop BB23_29 Depth 2
	v_mov_b64_e32 v[4:5], 1.0
	s_and_not1_b32 vcc_lo, exec_lo, s9
	s_cbranch_vccnz .LBB23_24
; %bb.23:                               ;   in Loop: Header=BB23_22 Depth=1
	s_add_co_i32 s24, s8, s10
	s_delay_alu instid0(SALU_CYCLE_1) | instskip(NEXT) | instid1(SALU_CYCLE_1)
	s_mul_i32 s24, s24, s18
	s_add_co_i32 s24, s24, s8
	s_wait_loadcnt 0x0
	v_mov_b32_e32 v2, s24
	global_load_b64 v[4:5], v2, s[16:17] scale_offset
.LBB23_24:                              ;   in Loop: Header=BB23_22 Depth=1
	s_add_co_i32 s24, s8, s7
	s_wait_loadcnt 0x0
	s_delay_alu instid0(VALU_DEP_1)
	v_cmp_eq_f64_e32 vcc_lo, 0, v[4:5]
	v_mad_u32 v6, s24, s22, v1
	global_load_b64 v[2:3], v6, s[20:21] scale_offset
	s_cbranch_vccnz .LBB23_26
; %bb.25:                               ;   in Loop: Header=BB23_22 Depth=1
	s_wait_loadcnt 0x0
	v_div_scale_f64 v[10:11], null, v[4:5], v[4:5], v[2:3]
	v_ashrrev_i32_e32 v7, 31, v6
	s_delay_alu instid0(VALU_DEP_2) | instskip(SKIP_1) | instid1(TRANS32_DEP_1)
	v_rcp_f64_e32 v[12:13], v[10:11]
	v_nop
	v_fma_f64 v[14:15], -v[10:11], v[12:13], 1.0
	s_delay_alu instid0(VALU_DEP_1) | instskip(NEXT) | instid1(VALU_DEP_1)
	v_fmac_f64_e32 v[12:13], v[12:13], v[14:15]
	v_fma_f64 v[14:15], -v[10:11], v[12:13], 1.0
	s_delay_alu instid0(VALU_DEP_1) | instskip(SKIP_1) | instid1(VALU_DEP_1)
	v_fmac_f64_e32 v[12:13], v[12:13], v[14:15]
	v_div_scale_f64 v[14:15], vcc_lo, v[2:3], v[4:5], v[2:3]
	v_mul_f64_e32 v[16:17], v[14:15], v[12:13]
	s_delay_alu instid0(VALU_DEP_1) | instskip(NEXT) | instid1(VALU_DEP_1)
	v_fma_f64 v[10:11], -v[10:11], v[16:17], v[14:15]
	v_div_fmas_f64 v[10:11], v[10:11], v[12:13], v[16:17]
	s_delay_alu instid0(VALU_DEP_1)
	v_div_fixup_f64 v[2:3], v[10:11], v[4:5], v[2:3]
	v_lshl_add_u64 v[4:5], v[6:7], 3, s[20:21]
	global_store_b64 v[4:5], v[2:3], off
	s_wait_xcnt 0x0
	v_add_nc_u32_e32 v4, s8, v8
	s_mov_b32 s24, exec_lo
	s_delay_alu instid0(VALU_DEP_1)
	v_cmpx_gt_i32_e64 s18, v4
	s_cbranch_execz .LBB23_21
	s_branch .LBB23_27
.LBB23_26:                              ;   in Loop: Header=BB23_22 Depth=1
	s_mov_b32 s23, -1
	v_add_nc_u32_e32 v4, s8, v8
	s_mov_b32 s24, exec_lo
	s_wait_xcnt 0x0
	s_delay_alu instid0(VALU_DEP_1)
	v_cmpx_gt_i32_e64 s18, v4
	s_cbranch_execz .LBB23_21
.LBB23_27:                              ;   in Loop: Header=BB23_22 Depth=1
	v_dual_mov_b32 v5, v9 :: v_dual_mov_b32 v6, v8
	s_mov_b32 s25, 0
	s_branch .LBB23_29
.LBB23_28:                              ;   in Loop: Header=BB23_29 Depth=2
	global_load_b64 v[10:11], v7, s[16:17] scale_offset
	global_load_b64 v[12:13], v5, s[20:21] scale_offset
	v_dual_add_nc_u32 v6, 4, v6 :: v_dual_add_nc_u32 v4, 4, v4
	s_wait_loadcnt 0x0
	v_fma_f64 v[10:11], -v[2:3], v[10:11], v[12:13]
	global_store_b64 v5, v[10:11], s[20:21] scale_offset
	s_wait_xcnt 0x0
	v_dual_add_nc_u32 v5, s13, v5 :: v_dual_add_nc_u32 v7, s8, v6
	s_delay_alu instid0(VALU_DEP_1) | instskip(SKIP_1) | instid1(SALU_CYCLE_1)
	v_cmp_le_i32_e32 vcc_lo, s18, v7
	s_or_b32 s25, vcc_lo, s25
	s_and_not1_b32 exec_lo, exec_lo, s25
	s_cbranch_execz .LBB23_21
.LBB23_29:                              ;   Parent Loop BB23_22 Depth=1
                                        ; =>  This Inner Loop Header: Depth=2
	s_and_b32 vcc_lo, exec_lo, s11
	s_cbranch_vccz .LBB23_31
; %bb.30:                               ;   in Loop: Header=BB23_29 Depth=2
	v_add_nc_u32_e32 v7, s14, v6
	s_cbranch_execnz .LBB23_28
	s_branch .LBB23_32
.LBB23_31:                              ;   in Loop: Header=BB23_29 Depth=2
                                        ; implicit-def: $vgpr7
.LBB23_32:                              ;   in Loop: Header=BB23_29 Depth=2
	v_add_nc_u32_e32 v7, s10, v4
	s_delay_alu instid0(VALU_DEP_1)
	v_mad_u32 v7, v7, s18, s8
	s_branch .LBB23_28
.LBB23_33:
	s_and_b32 s8, s23, exec_lo
.LBB23_34:
	s_or_b32 exec_lo, exec_lo, s1
	v_cmp_eq_u32_e32 vcc_lo, 0, v0
	global_wb scope:SCOPE_DEV
	s_wait_loadcnt 0x0
	s_wait_storecnt 0x0
	global_inv scope:SCOPE_DEV
	s_wait_loadcnt 0x0
	s_barrier_signal -1
	s_barrier_wait -1
	s_and_b32 s0, vcc_lo, s0
	s_delay_alu instid0(SALU_CYCLE_1)
	s_and_saveexec_b32 s1, s0
	s_cbranch_execz .LBB23_38
; %bb.35:
	s_add_co_i32 s0, s6, s15
	s_delay_alu instid0(SALU_CYCLE_1)
	v_dual_mov_b32 v0, 1 :: v_dual_mov_b32 v1, s0
	global_store_b32 v1, v0, s[4:5] scale_offset scope:SCOPE_DEV
	s_wait_xcnt 0x0
	s_and_b32 exec_lo, exec_lo, s8
	s_cbranch_execz .LBB23_38
; %bb.36:
	v_mbcnt_lo_u32_b32 v0, exec_lo, 0
	s_delay_alu instid0(VALU_DEP_1)
	v_cmp_eq_u32_e32 vcc_lo, 0, v0
	s_and_b32 exec_lo, exec_lo, vcc_lo
	s_cbranch_execz .LBB23_38
; %bb.37:
	s_add_co_i32 s0, s6, s12
	s_delay_alu instid0(SALU_CYCLE_1)
	v_dual_mov_b32 v0, 0 :: v_dual_mov_b32 v1, s0
	global_atomic_min_i32 v0, v1, s[2:3] scope:SCOPE_DEV
.LBB23_38:
	s_endpgm
	.section	.rodata,"a",@progbits
	.p2align	6, 0x0
	.amdhsa_kernel _ZN9rocsparseL24bsrsm_lower_large_kernelILj64ELj16ELb0EdEEviiPKiS2_PKT2_iPS3_iPiS2_S7_21rocsparse_index_base_20rocsparse_diag_type_20rocsparse_direction_
		.amdhsa_group_segment_fixed_size 0
		.amdhsa_private_segment_fixed_size 0
		.amdhsa_kernarg_size 92
		.amdhsa_user_sgpr_count 2
		.amdhsa_user_sgpr_dispatch_ptr 0
		.amdhsa_user_sgpr_queue_ptr 0
		.amdhsa_user_sgpr_kernarg_segment_ptr 1
		.amdhsa_user_sgpr_dispatch_id 0
		.amdhsa_user_sgpr_kernarg_preload_length 0
		.amdhsa_user_sgpr_kernarg_preload_offset 0
		.amdhsa_user_sgpr_private_segment_size 0
		.amdhsa_wavefront_size32 1
		.amdhsa_uses_dynamic_stack 0
		.amdhsa_enable_private_segment 0
		.amdhsa_system_sgpr_workgroup_id_x 1
		.amdhsa_system_sgpr_workgroup_id_y 0
		.amdhsa_system_sgpr_workgroup_id_z 0
		.amdhsa_system_sgpr_workgroup_info 0
		.amdhsa_system_vgpr_workitem_id 0
		.amdhsa_next_free_vgpr 18
		.amdhsa_next_free_sgpr 36
		.amdhsa_named_barrier_count 0
		.amdhsa_reserve_vcc 1
		.amdhsa_float_round_mode_32 0
		.amdhsa_float_round_mode_16_64 0
		.amdhsa_float_denorm_mode_32 3
		.amdhsa_float_denorm_mode_16_64 3
		.amdhsa_fp16_overflow 0
		.amdhsa_memory_ordered 1
		.amdhsa_forward_progress 1
		.amdhsa_inst_pref_size 13
		.amdhsa_round_robin_scheduling 0
		.amdhsa_exception_fp_ieee_invalid_op 0
		.amdhsa_exception_fp_denorm_src 0
		.amdhsa_exception_fp_ieee_div_zero 0
		.amdhsa_exception_fp_ieee_overflow 0
		.amdhsa_exception_fp_ieee_underflow 0
		.amdhsa_exception_fp_ieee_inexact 0
		.amdhsa_exception_int_div_zero 0
	.end_amdhsa_kernel
	.section	.text._ZN9rocsparseL24bsrsm_lower_large_kernelILj64ELj16ELb0EdEEviiPKiS2_PKT2_iPS3_iPiS2_S7_21rocsparse_index_base_20rocsparse_diag_type_20rocsparse_direction_,"axG",@progbits,_ZN9rocsparseL24bsrsm_lower_large_kernelILj64ELj16ELb0EdEEviiPKiS2_PKT2_iPS3_iPiS2_S7_21rocsparse_index_base_20rocsparse_diag_type_20rocsparse_direction_,comdat
.Lfunc_end23:
	.size	_ZN9rocsparseL24bsrsm_lower_large_kernelILj64ELj16ELb0EdEEviiPKiS2_PKT2_iPS3_iPiS2_S7_21rocsparse_index_base_20rocsparse_diag_type_20rocsparse_direction_, .Lfunc_end23-_ZN9rocsparseL24bsrsm_lower_large_kernelILj64ELj16ELb0EdEEviiPKiS2_PKT2_iPS3_iPiS2_S7_21rocsparse_index_base_20rocsparse_diag_type_20rocsparse_direction_
                                        ; -- End function
	.set _ZN9rocsparseL24bsrsm_lower_large_kernelILj64ELj16ELb0EdEEviiPKiS2_PKT2_iPS3_iPiS2_S7_21rocsparse_index_base_20rocsparse_diag_type_20rocsparse_direction_.num_vgpr, 18
	.set _ZN9rocsparseL24bsrsm_lower_large_kernelILj64ELj16ELb0EdEEviiPKiS2_PKT2_iPS3_iPiS2_S7_21rocsparse_index_base_20rocsparse_diag_type_20rocsparse_direction_.num_agpr, 0
	.set _ZN9rocsparseL24bsrsm_lower_large_kernelILj64ELj16ELb0EdEEviiPKiS2_PKT2_iPS3_iPiS2_S7_21rocsparse_index_base_20rocsparse_diag_type_20rocsparse_direction_.numbered_sgpr, 36
	.set _ZN9rocsparseL24bsrsm_lower_large_kernelILj64ELj16ELb0EdEEviiPKiS2_PKT2_iPS3_iPiS2_S7_21rocsparse_index_base_20rocsparse_diag_type_20rocsparse_direction_.num_named_barrier, 0
	.set _ZN9rocsparseL24bsrsm_lower_large_kernelILj64ELj16ELb0EdEEviiPKiS2_PKT2_iPS3_iPiS2_S7_21rocsparse_index_base_20rocsparse_diag_type_20rocsparse_direction_.private_seg_size, 0
	.set _ZN9rocsparseL24bsrsm_lower_large_kernelILj64ELj16ELb0EdEEviiPKiS2_PKT2_iPS3_iPiS2_S7_21rocsparse_index_base_20rocsparse_diag_type_20rocsparse_direction_.uses_vcc, 1
	.set _ZN9rocsparseL24bsrsm_lower_large_kernelILj64ELj16ELb0EdEEviiPKiS2_PKT2_iPS3_iPiS2_S7_21rocsparse_index_base_20rocsparse_diag_type_20rocsparse_direction_.uses_flat_scratch, 0
	.set _ZN9rocsparseL24bsrsm_lower_large_kernelILj64ELj16ELb0EdEEviiPKiS2_PKT2_iPS3_iPiS2_S7_21rocsparse_index_base_20rocsparse_diag_type_20rocsparse_direction_.has_dyn_sized_stack, 0
	.set _ZN9rocsparseL24bsrsm_lower_large_kernelILj64ELj16ELb0EdEEviiPKiS2_PKT2_iPS3_iPiS2_S7_21rocsparse_index_base_20rocsparse_diag_type_20rocsparse_direction_.has_recursion, 0
	.set _ZN9rocsparseL24bsrsm_lower_large_kernelILj64ELj16ELb0EdEEviiPKiS2_PKT2_iPS3_iPiS2_S7_21rocsparse_index_base_20rocsparse_diag_type_20rocsparse_direction_.has_indirect_call, 0
	.section	.AMDGPU.csdata,"",@progbits
; Kernel info:
; codeLenInByte = 1616
; TotalNumSgprs: 38
; NumVgprs: 18
; ScratchSize: 0
; MemoryBound: 0
; FloatMode: 240
; IeeeMode: 1
; LDSByteSize: 0 bytes/workgroup (compile time only)
; SGPRBlocks: 0
; VGPRBlocks: 1
; NumSGPRsForWavesPerEU: 38
; NumVGPRsForWavesPerEU: 18
; NamedBarCnt: 0
; Occupancy: 16
; WaveLimiterHint : 1
; COMPUTE_PGM_RSRC2:SCRATCH_EN: 0
; COMPUTE_PGM_RSRC2:USER_SGPR: 2
; COMPUTE_PGM_RSRC2:TRAP_HANDLER: 0
; COMPUTE_PGM_RSRC2:TGID_X_EN: 1
; COMPUTE_PGM_RSRC2:TGID_Y_EN: 0
; COMPUTE_PGM_RSRC2:TGID_Z_EN: 0
; COMPUTE_PGM_RSRC2:TIDIG_COMP_CNT: 0
	.section	.text._ZN9rocsparseL24bsrsm_upper_large_kernelILj128ELj16ELb0EdEEviiPKiS2_PKT2_iPS3_iPiS2_S7_21rocsparse_index_base_20rocsparse_diag_type_20rocsparse_direction_,"axG",@progbits,_ZN9rocsparseL24bsrsm_upper_large_kernelILj128ELj16ELb0EdEEviiPKiS2_PKT2_iPS3_iPiS2_S7_21rocsparse_index_base_20rocsparse_diag_type_20rocsparse_direction_,comdat
	.globl	_ZN9rocsparseL24bsrsm_upper_large_kernelILj128ELj16ELb0EdEEviiPKiS2_PKT2_iPS3_iPiS2_S7_21rocsparse_index_base_20rocsparse_diag_type_20rocsparse_direction_ ; -- Begin function _ZN9rocsparseL24bsrsm_upper_large_kernelILj128ELj16ELb0EdEEviiPKiS2_PKT2_iPS3_iPiS2_S7_21rocsparse_index_base_20rocsparse_diag_type_20rocsparse_direction_
	.p2align	8
	.type	_ZN9rocsparseL24bsrsm_upper_large_kernelILj128ELj16ELb0EdEEviiPKiS2_PKT2_iPS3_iPiS2_S7_21rocsparse_index_base_20rocsparse_diag_type_20rocsparse_direction_,@function
_ZN9rocsparseL24bsrsm_upper_large_kernelILj128ELj16ELb0EdEEviiPKiS2_PKT2_iPS3_iPiS2_S7_21rocsparse_index_base_20rocsparse_diag_type_20rocsparse_direction_: ; @_ZN9rocsparseL24bsrsm_upper_large_kernelILj128ELj16ELb0EdEEviiPKiS2_PKT2_iPS3_iPiS2_S7_21rocsparse_index_base_20rocsparse_diag_type_20rocsparse_direction_
; %bb.0:
	s_clause 0x1
	s_load_b64 s[24:25], s[0:1], 0x0
	s_load_b128 s[8:11], s[0:1], 0x8
	s_bfe_u32 s4, ttmp6, 0x4000c
	s_and_b32 s3, ttmp6, 15
	s_add_co_i32 s4, s4, 1
	s_getreg_b32 s5, hwreg(HW_REG_IB_STS2, 6, 4)
	s_mul_i32 s4, ttmp9, s4
	v_dual_lshrrev_b32 v4, 3, v0 :: v_dual_bitop2_b32 v8, 7, v0 bitop3:0x40
	s_add_co_i32 s3, s3, s4
	s_wait_kmcnt 0x0
	s_cvt_f32_u32 s2, s24
	s_sub_co_i32 s6, 0, s24
	s_delay_alu instid0(SALU_CYCLE_2) | instskip(SKIP_1) | instid1(TRANS32_DEP_1)
	v_rcp_iflag_f32_e32 v1, s2
	v_nop
	v_readfirstlane_b32 s2, v1
	s_mul_f32 s2, s2, 0x4f7ffffe
	s_delay_alu instid0(SALU_CYCLE_3) | instskip(NEXT) | instid1(SALU_CYCLE_3)
	s_cvt_u32_f32 s2, s2
	s_mul_i32 s6, s6, s2
	s_delay_alu instid0(SALU_CYCLE_1) | instskip(NEXT) | instid1(SALU_CYCLE_1)
	s_mul_hi_u32 s6, s2, s6
	s_add_co_i32 s2, s2, s6
	s_cmp_eq_u32 s5, 0
	s_load_b128 s[4:7], s[0:1], 0x38
	s_cselect_b32 s3, ttmp9, s3
	s_delay_alu instid0(SALU_CYCLE_1) | instskip(NEXT) | instid1(SALU_CYCLE_1)
	s_mul_hi_u32 s2, s3, s2
	s_mul_i32 s12, s2, s24
	s_add_co_i32 s13, s2, 1
	s_sub_co_i32 s12, s3, s12
	s_delay_alu instid0(SALU_CYCLE_1)
	s_sub_co_i32 s14, s12, s24
	s_cmp_ge_u32 s12, s24
	s_cselect_b32 s2, s13, s2
	s_cselect_b32 s12, s14, s12
	s_add_co_i32 s13, s2, 1
	s_cmp_ge_u32 s12, s24
	s_cselect_b32 s19, s13, s2
	s_delay_alu instid0(SALU_CYCLE_1) | instskip(SKIP_4) | instid1(SALU_CYCLE_1)
	s_mul_i32 s15, s19, s24
	s_lshl_b32 s19, s19, 4
	s_sub_co_i32 s2, s3, s15
	v_or_b32_e32 v1, s19, v4
	s_ashr_i32 s3, s2, 31
	s_lshl_b64 s[12:13], s[2:3], 2
	s_load_b64 s[2:3], s[0:1], 0x48
	s_wait_kmcnt 0x0
	s_add_nc_u64 s[6:7], s[6:7], s[12:13]
	s_load_b96 s[12:14], s[0:1], 0x50
	v_cmp_gt_i32_e32 vcc_lo, s25, v1
	s_load_b32 s6, s[6:7], 0x0
	s_wait_kmcnt 0x0
	s_ashr_i32 s7, s6, 31
	s_delay_alu instid0(SALU_CYCLE_1) | instskip(NEXT) | instid1(SALU_CYCLE_1)
	s_lshl_b64 s[16:17], s[6:7], 2
	s_add_nc_u64 s[8:9], s[8:9], s[16:17]
	s_load_b64 s[26:27], s[8:9], 0x0
	s_clause 0x1
	s_load_b96 s[16:18], s[0:1], 0x18
	s_load_b96 s[20:22], s[0:1], 0x28
	s_wait_xcnt 0x0
	s_not_b32 s0, s12
	s_wait_kmcnt 0x0
	s_add_co_i32 s23, s27, s0
	v_cmp_eq_u32_e64 s0, 0, v0
	s_sub_co_i32 s26, s26, s12
	s_mul_i32 s7, s6, s18
	s_cmp_lt_i32 s23, s26
	s_cbranch_scc1 .LBB24_18
; %bb.1:
	v_mad_u32 v2, s18, s23, v8
	v_cmp_gt_i32_e64 s1, s18, v8
	v_mov_b32_e32 v6, 0
	s_cmp_lg_u32 s14, 0
	s_mul_i32 s29, s22, s18
	s_cselect_b32 s27, -1, 0
	s_and_b32 s1, vcc_lo, s1
	s_mul_i32 s30, s18, s18
	s_lshl_b32 s31, s18, 3
	v_mul_lo_u32 v5, s18, v2
	s_branch .LBB24_3
.LBB24_2:                               ;   in Loop: Header=BB24_3 Depth=1
                                        ; implicit-def: $vgpr5
	s_cbranch_execnz .LBB24_19
.LBB24_3:                               ; =>This Loop Header: Depth=1
                                        ;     Child Loop BB24_7 Depth 2
                                        ;     Child Loop BB24_11 Depth 2
                                        ;       Child Loop BB24_13 Depth 3
	s_wait_xcnt 0x0
	v_mov_b32_e32 v2, s23
	global_load_b32 v2, v2, s[10:11] scale_offset
	s_wait_loadcnt 0x0
	v_readfirstlane_b32 s8, v2
	s_sub_co_i32 s28, s8, s12
	s_delay_alu instid0(SALU_CYCLE_1)
	s_cmp_le_i32 s28, s6
	s_cbranch_scc1 .LBB24_2
; %bb.4:                                ;   in Loop: Header=BB24_3 Depth=1
	s_wait_xcnt 0x0
	s_and_saveexec_b32 s33, s0
	s_cbranch_execz .LBB24_8
; %bb.5:                                ;   in Loop: Header=BB24_3 Depth=1
	s_add_co_i32 s8, s28, s15
	s_delay_alu instid0(SALU_CYCLE_1)
	v_mov_b32_e32 v2, s8
	global_load_b32 v2, v2, s[4:5] scale_offset scope:SCOPE_DEV
	s_wait_loadcnt 0x0
	v_cmp_ne_u32_e32 vcc_lo, 0, v2
	s_cbranch_vccnz .LBB24_8
; %bb.6:                                ;   in Loop: Header=BB24_3 Depth=1
	s_ashr_i32 s9, s8, 31
	s_delay_alu instid0(SALU_CYCLE_1) | instskip(NEXT) | instid1(SALU_CYCLE_1)
	s_lshl_b64 s[8:9], s[8:9], 2
	s_add_nc_u64 s[8:9], s[4:5], s[8:9]
.LBB24_7:                               ;   Parent Loop BB24_3 Depth=1
                                        ; =>  This Inner Loop Header: Depth=2
	global_load_b32 v2, v6, s[8:9] scope:SCOPE_DEV
	s_wait_loadcnt 0x0
	v_cmp_eq_u32_e32 vcc_lo, 0, v2
	s_cbranch_vccnz .LBB24_7
.LBB24_8:                               ;   in Loop: Header=BB24_3 Depth=1
	s_wait_xcnt 0x0
	s_or_b32 exec_lo, exec_lo, s33
	global_wb scope:SCOPE_DEV
	s_wait_storecnt 0x0
	global_inv scope:SCOPE_DEV
	s_wait_loadcnt 0x0
	s_barrier_signal -1
	s_barrier_wait -1
	s_and_saveexec_b32 s8, s1
	s_cbranch_execz .LBB24_17
; %bb.9:                                ;   in Loop: Header=BB24_3 Depth=1
	v_mad_u32 v7, s29, s28, v1
	v_dual_mov_b32 v9, v5 :: v_dual_mov_b32 v10, v8
	s_mul_i32 s9, s23, s18
	s_mov_b32 s33, 0
	s_branch .LBB24_11
.LBB24_10:                              ;   in Loop: Header=BB24_11 Depth=2
	v_dual_add_nc_u32 v11, s7, v10 :: v_dual_add_nc_u32 v10, 8, v10
	v_add_nc_u32_e32 v9, s31, v9
	s_delay_alu instid0(VALU_DEP_2) | instskip(NEXT) | instid1(VALU_DEP_3)
	v_mad_u32 v11, v11, s22, v1
	v_cmp_le_i32_e32 vcc_lo, s18, v10
	s_or_b32 s33, vcc_lo, s33
	global_load_b64 v[12:13], v11, s[20:21] scale_offset
	s_wait_loadcnt 0x0
	v_add_f64_e64 v[2:3], v[12:13], -v[2:3]
	global_store_b64 v11, v[2:3], s[20:21] scale_offset
	s_wait_xcnt 0x0
	s_and_not1_b32 exec_lo, exec_lo, s33
	s_cbranch_execz .LBB24_17
.LBB24_11:                              ;   Parent Loop BB24_3 Depth=1
                                        ; =>  This Loop Header: Depth=2
                                        ;       Child Loop BB24_13 Depth 3
	v_mov_b64_e32 v[2:3], 0
	s_delay_alu instid0(VALU_DEP_3)
	v_mov_b32_e32 v11, v7
	s_mov_b32 s34, 0
	s_branch .LBB24_13
.LBB24_12:                              ;   in Loop: Header=BB24_13 Depth=3
	global_load_b64 v[14:15], v12, s[16:17] scale_offset
	global_load_b64 v[16:17], v11, s[20:21] scale_offset
	s_wait_xcnt 0x0
	v_add_nc_u32_e32 v11, s22, v11
	s_add_co_i32 s34, s34, 1
	s_delay_alu instid0(SALU_CYCLE_1)
	s_cmp_eq_u32 s18, s34
	s_wait_loadcnt 0x0
	v_fmac_f64_e32 v[2:3], v[14:15], v[16:17]
	s_cbranch_scc1 .LBB24_10
.LBB24_13:                              ;   Parent Loop BB24_3 Depth=1
                                        ;     Parent Loop BB24_11 Depth=2
                                        ; =>    This Inner Loop Header: Depth=3
	s_and_b32 vcc_lo, exec_lo, s27
	s_cbranch_vccz .LBB24_15
; %bb.14:                               ;   in Loop: Header=BB24_13 Depth=3
	s_add_co_i32 s35, s34, s9
	s_delay_alu instid0(SALU_CYCLE_1)
	v_mad_u32 v12, s35, s18, v10
	s_cbranch_execnz .LBB24_12
	s_branch .LBB24_16
.LBB24_15:                              ;   in Loop: Header=BB24_13 Depth=3
                                        ; implicit-def: $vgpr12
.LBB24_16:                              ;   in Loop: Header=BB24_13 Depth=3
	v_add_nc_u32_e32 v12, s34, v9
	s_branch .LBB24_12
.LBB24_17:                              ;   in Loop: Header=BB24_3 Depth=1
	s_or_b32 exec_lo, exec_lo, s8
	s_add_co_i32 s9, s23, -1
	s_cmp_le_i32 s23, s26
	v_subrev_nc_u32_e32 v5, s30, v5
	s_cselect_b32 s8, -1, 0
	s_mov_b32 s23, s9
	s_and_b32 vcc_lo, exec_lo, s8
	s_cbranch_vccz .LBB24_3
	s_branch .LBB24_19
.LBB24_18:
	s_mov_b32 s28, s24
.LBB24_19:
	s_cmp_lt_i32 s6, s24
	v_cmp_gt_i32_e32 vcc_lo, s25, v1
	s_cselect_b32 s0, -1, 0
	s_cmp_eq_u32 s6, s28
	s_cselect_b32 s1, -1, 0
	s_delay_alu instid0(SALU_CYCLE_1) | instskip(SKIP_2) | instid1(SALU_CYCLE_1)
	s_and_b32 s1, vcc_lo, s1
	s_cmp_gt_i32 s18, 0
	s_cselect_b32 s8, -1, 0
	s_and_b32 s1, s1, s8
	s_mov_b32 s8, 0
	s_and_b32 s9, s1, s0
	s_wait_xcnt 0x0
	s_and_saveexec_b32 s1, s9
	s_cbranch_execz .LBB24_35
; %bb.20:
	v_add_nc_u32_e32 v2, s7, v8
	s_cmp_eq_u32 s13, 0
	s_mov_b32 s10, 0
	s_cselect_b32 s8, -1, 0
	s_cmp_lg_u32 s14, 0
	v_mul_lo_u32 v2, s22, v2
	s_cselect_b32 s9, -1, 0
	s_add_co_i32 s11, s23, 1
	s_delay_alu instid0(SALU_CYCLE_1) | instskip(SKIP_4) | instid1(VALU_DEP_1)
	s_mul_i32 s13, s18, s11
	s_mul_i32 s11, s23, s18
	s_add_co_i32 s14, s13, -1
	s_lshl_b32 s13, s22, 3
	s_mul_i32 s14, s18, s14
	v_add3_u32 v9, v4, v2, s19
	s_mov_b32 s19, s18
	v_mov_b64_e32 v[4:5], 1.0
	s_and_not1_b32 vcc_lo, exec_lo, s8
	s_add_co_i32 s23, s19, -1
	s_cbranch_vccnz .LBB24_22
.LBB24_21:
	s_add_co_i32 s24, s23, s11
	s_delay_alu instid0(SALU_CYCLE_1) | instskip(NEXT) | instid1(SALU_CYCLE_1)
	s_mul_i32 s24, s24, s18
	s_add_co_i32 s24, s24, s23
	s_wait_loadcnt 0x0
	v_mov_b32_e32 v2, s24
	global_load_b64 v[4:5], v2, s[16:17] scale_offset
.LBB24_22:                              ; =>This Loop Header: Depth=1
                                        ;     Child Loop BB24_27 Depth 2
	s_add_co_i32 s24, s23, s7
	s_wait_loadcnt 0x0
	s_delay_alu instid0(VALU_DEP_1)
	v_cmp_eq_f64_e32 vcc_lo, 0, v[4:5]
	v_mad_u32 v6, s24, s22, v1
	global_load_b64 v[2:3], v6, s[20:21] scale_offset
	s_cbranch_vccnz .LBB24_24
; %bb.23:                               ;   in Loop: Header=BB24_22 Depth=1
	s_wait_loadcnt 0x0
	v_div_scale_f64 v[10:11], null, v[4:5], v[4:5], v[2:3]
	v_ashrrev_i32_e32 v7, 31, v6
	s_delay_alu instid0(VALU_DEP_2) | instskip(SKIP_1) | instid1(TRANS32_DEP_1)
	v_rcp_f64_e32 v[12:13], v[10:11]
	v_nop
	v_fma_f64 v[14:15], -v[10:11], v[12:13], 1.0
	s_delay_alu instid0(VALU_DEP_1) | instskip(NEXT) | instid1(VALU_DEP_1)
	v_fmac_f64_e32 v[12:13], v[12:13], v[14:15]
	v_fma_f64 v[14:15], -v[10:11], v[12:13], 1.0
	s_delay_alu instid0(VALU_DEP_1) | instskip(SKIP_1) | instid1(VALU_DEP_1)
	v_fmac_f64_e32 v[12:13], v[12:13], v[14:15]
	v_div_scale_f64 v[14:15], vcc_lo, v[2:3], v[4:5], v[2:3]
	v_mul_f64_e32 v[16:17], v[14:15], v[12:13]
	s_delay_alu instid0(VALU_DEP_1) | instskip(NEXT) | instid1(VALU_DEP_1)
	v_fma_f64 v[10:11], -v[10:11], v[16:17], v[14:15]
	v_div_fmas_f64 v[10:11], v[10:11], v[12:13], v[16:17]
	s_delay_alu instid0(VALU_DEP_1)
	v_div_fixup_f64 v[2:3], v[10:11], v[4:5], v[2:3]
	v_lshl_add_u64 v[4:5], v[6:7], 3, s[20:21]
	global_store_b64 v[4:5], v[2:3], off
	s_mov_b32 s24, exec_lo
	s_wait_xcnt 0x0
	v_cmpx_gt_i32_e64 s23, v8
	s_cbranch_execnz .LBB24_25
	s_branch .LBB24_31
.LBB24_24:                              ;   in Loop: Header=BB24_22 Depth=1
	s_mov_b32 s10, -1
	s_mov_b32 s24, exec_lo
	s_wait_xcnt 0x0
	v_cmpx_gt_i32_e64 s23, v8
	s_cbranch_execz .LBB24_31
.LBB24_25:                              ;   in Loop: Header=BB24_22 Depth=1
	v_dual_mov_b32 v4, v9 :: v_dual_mov_b32 v5, v8
	s_mov_b32 s25, 0
	s_branch .LBB24_27
.LBB24_26:                              ;   in Loop: Header=BB24_27 Depth=2
	global_load_b64 v[10:11], v6, s[16:17] scale_offset
	global_load_b64 v[12:13], v4, s[20:21] scale_offset
	v_add_nc_u32_e32 v5, 8, v5
	s_delay_alu instid0(VALU_DEP_1)
	v_cmp_le_i32_e32 vcc_lo, s23, v5
	s_or_b32 s25, vcc_lo, s25
	s_wait_loadcnt 0x0
	s_wait_xcnt 0x1
	v_fma_f64 v[6:7], -v[2:3], v[10:11], v[12:13]
	global_store_b64 v4, v[6:7], s[20:21] scale_offset
	s_wait_xcnt 0x0
	v_add_nc_u32_e32 v4, s13, v4
	s_and_not1_b32 exec_lo, exec_lo, s25
	s_cbranch_execz .LBB24_31
.LBB24_27:                              ;   Parent Loop BB24_22 Depth=1
                                        ; =>  This Inner Loop Header: Depth=2
	s_and_b32 vcc_lo, exec_lo, s9
	s_cbranch_vccz .LBB24_29
; %bb.28:                               ;   in Loop: Header=BB24_27 Depth=2
	v_add_nc_u32_e32 v6, s14, v5
	s_cbranch_execnz .LBB24_26
	s_branch .LBB24_30
.LBB24_29:                              ;   in Loop: Header=BB24_27 Depth=2
                                        ; implicit-def: $vgpr6
.LBB24_30:                              ;   in Loop: Header=BB24_27 Depth=2
	v_add_nc_u32_e32 v6, s11, v5
	s_delay_alu instid0(VALU_DEP_1)
	v_mad_u32 v6, v6, s18, s23
	s_branch .LBB24_26
.LBB24_31:                              ;   in Loop: Header=BB24_22 Depth=1
	s_or_b32 exec_lo, exec_lo, s24
; %bb.32:                               ;   in Loop: Header=BB24_22 Depth=1
	s_sub_co_i32 s14, s14, s18
	s_cmp_lt_i32 s19, 2
	s_cbranch_scc1 .LBB24_34
; %bb.33:                               ;   in Loop: Header=BB24_22 Depth=1
	s_mov_b32 s19, s23
	v_mov_b64_e32 v[4:5], 1.0
	s_and_not1_b32 vcc_lo, exec_lo, s8
	s_add_co_i32 s23, s19, -1
	s_cbranch_vccnz .LBB24_22
	s_branch .LBB24_21
.LBB24_34:
	s_and_b32 s8, s10, exec_lo
.LBB24_35:
	s_or_b32 exec_lo, exec_lo, s1
	v_cmp_eq_u32_e32 vcc_lo, 0, v0
	global_wb scope:SCOPE_DEV
	s_wait_loadcnt 0x0
	s_wait_storecnt 0x0
	global_inv scope:SCOPE_DEV
	s_wait_loadcnt 0x0
	s_barrier_signal -1
	s_barrier_wait -1
	s_and_b32 s0, vcc_lo, s0
	s_delay_alu instid0(SALU_CYCLE_1)
	s_and_saveexec_b32 s1, s0
	s_cbranch_execz .LBB24_39
; %bb.36:
	s_add_co_i32 s0, s6, s15
	s_delay_alu instid0(SALU_CYCLE_1)
	v_dual_mov_b32 v0, 1 :: v_dual_mov_b32 v1, s0
	global_store_b32 v1, v0, s[4:5] scale_offset scope:SCOPE_DEV
	s_wait_xcnt 0x0
	s_and_b32 exec_lo, exec_lo, s8
	s_cbranch_execz .LBB24_39
; %bb.37:
	v_mbcnt_lo_u32_b32 v0, exec_lo, 0
	s_delay_alu instid0(VALU_DEP_1)
	v_cmp_eq_u32_e32 vcc_lo, 0, v0
	s_and_b32 exec_lo, exec_lo, vcc_lo
	s_cbranch_execz .LBB24_39
; %bb.38:
	s_add_co_i32 s0, s6, s12
	s_delay_alu instid0(SALU_CYCLE_1)
	v_dual_mov_b32 v0, 0 :: v_dual_mov_b32 v1, s0
	global_atomic_min_i32 v0, v1, s[2:3] scope:SCOPE_DEV
.LBB24_39:
	s_endpgm
	.section	.rodata,"a",@progbits
	.p2align	6, 0x0
	.amdhsa_kernel _ZN9rocsparseL24bsrsm_upper_large_kernelILj128ELj16ELb0EdEEviiPKiS2_PKT2_iPS3_iPiS2_S7_21rocsparse_index_base_20rocsparse_diag_type_20rocsparse_direction_
		.amdhsa_group_segment_fixed_size 0
		.amdhsa_private_segment_fixed_size 0
		.amdhsa_kernarg_size 92
		.amdhsa_user_sgpr_count 2
		.amdhsa_user_sgpr_dispatch_ptr 0
		.amdhsa_user_sgpr_queue_ptr 0
		.amdhsa_user_sgpr_kernarg_segment_ptr 1
		.amdhsa_user_sgpr_dispatch_id 0
		.amdhsa_user_sgpr_kernarg_preload_length 0
		.amdhsa_user_sgpr_kernarg_preload_offset 0
		.amdhsa_user_sgpr_private_segment_size 0
		.amdhsa_wavefront_size32 1
		.amdhsa_uses_dynamic_stack 0
		.amdhsa_enable_private_segment 0
		.amdhsa_system_sgpr_workgroup_id_x 1
		.amdhsa_system_sgpr_workgroup_id_y 0
		.amdhsa_system_sgpr_workgroup_id_z 0
		.amdhsa_system_sgpr_workgroup_info 0
		.amdhsa_system_vgpr_workitem_id 0
		.amdhsa_next_free_vgpr 18
		.amdhsa_next_free_sgpr 36
		.amdhsa_named_barrier_count 0
		.amdhsa_reserve_vcc 1
		.amdhsa_float_round_mode_32 0
		.amdhsa_float_round_mode_16_64 0
		.amdhsa_float_denorm_mode_32 3
		.amdhsa_float_denorm_mode_16_64 3
		.amdhsa_fp16_overflow 0
		.amdhsa_memory_ordered 1
		.amdhsa_forward_progress 1
		.amdhsa_inst_pref_size 13
		.amdhsa_round_robin_scheduling 0
		.amdhsa_exception_fp_ieee_invalid_op 0
		.amdhsa_exception_fp_denorm_src 0
		.amdhsa_exception_fp_ieee_div_zero 0
		.amdhsa_exception_fp_ieee_overflow 0
		.amdhsa_exception_fp_ieee_underflow 0
		.amdhsa_exception_fp_ieee_inexact 0
		.amdhsa_exception_int_div_zero 0
	.end_amdhsa_kernel
	.section	.text._ZN9rocsparseL24bsrsm_upper_large_kernelILj128ELj16ELb0EdEEviiPKiS2_PKT2_iPS3_iPiS2_S7_21rocsparse_index_base_20rocsparse_diag_type_20rocsparse_direction_,"axG",@progbits,_ZN9rocsparseL24bsrsm_upper_large_kernelILj128ELj16ELb0EdEEviiPKiS2_PKT2_iPS3_iPiS2_S7_21rocsparse_index_base_20rocsparse_diag_type_20rocsparse_direction_,comdat
.Lfunc_end24:
	.size	_ZN9rocsparseL24bsrsm_upper_large_kernelILj128ELj16ELb0EdEEviiPKiS2_PKT2_iPS3_iPiS2_S7_21rocsparse_index_base_20rocsparse_diag_type_20rocsparse_direction_, .Lfunc_end24-_ZN9rocsparseL24bsrsm_upper_large_kernelILj128ELj16ELb0EdEEviiPKiS2_PKT2_iPS3_iPiS2_S7_21rocsparse_index_base_20rocsparse_diag_type_20rocsparse_direction_
                                        ; -- End function
	.set _ZN9rocsparseL24bsrsm_upper_large_kernelILj128ELj16ELb0EdEEviiPKiS2_PKT2_iPS3_iPiS2_S7_21rocsparse_index_base_20rocsparse_diag_type_20rocsparse_direction_.num_vgpr, 18
	.set _ZN9rocsparseL24bsrsm_upper_large_kernelILj128ELj16ELb0EdEEviiPKiS2_PKT2_iPS3_iPiS2_S7_21rocsparse_index_base_20rocsparse_diag_type_20rocsparse_direction_.num_agpr, 0
	.set _ZN9rocsparseL24bsrsm_upper_large_kernelILj128ELj16ELb0EdEEviiPKiS2_PKT2_iPS3_iPiS2_S7_21rocsparse_index_base_20rocsparse_diag_type_20rocsparse_direction_.numbered_sgpr, 36
	.set _ZN9rocsparseL24bsrsm_upper_large_kernelILj128ELj16ELb0EdEEviiPKiS2_PKT2_iPS3_iPiS2_S7_21rocsparse_index_base_20rocsparse_diag_type_20rocsparse_direction_.num_named_barrier, 0
	.set _ZN9rocsparseL24bsrsm_upper_large_kernelILj128ELj16ELb0EdEEviiPKiS2_PKT2_iPS3_iPiS2_S7_21rocsparse_index_base_20rocsparse_diag_type_20rocsparse_direction_.private_seg_size, 0
	.set _ZN9rocsparseL24bsrsm_upper_large_kernelILj128ELj16ELb0EdEEviiPKiS2_PKT2_iPS3_iPiS2_S7_21rocsparse_index_base_20rocsparse_diag_type_20rocsparse_direction_.uses_vcc, 1
	.set _ZN9rocsparseL24bsrsm_upper_large_kernelILj128ELj16ELb0EdEEviiPKiS2_PKT2_iPS3_iPiS2_S7_21rocsparse_index_base_20rocsparse_diag_type_20rocsparse_direction_.uses_flat_scratch, 0
	.set _ZN9rocsparseL24bsrsm_upper_large_kernelILj128ELj16ELb0EdEEviiPKiS2_PKT2_iPS3_iPiS2_S7_21rocsparse_index_base_20rocsparse_diag_type_20rocsparse_direction_.has_dyn_sized_stack, 0
	.set _ZN9rocsparseL24bsrsm_upper_large_kernelILj128ELj16ELb0EdEEviiPKiS2_PKT2_iPS3_iPiS2_S7_21rocsparse_index_base_20rocsparse_diag_type_20rocsparse_direction_.has_recursion, 0
	.set _ZN9rocsparseL24bsrsm_upper_large_kernelILj128ELj16ELb0EdEEviiPKiS2_PKT2_iPS3_iPiS2_S7_21rocsparse_index_base_20rocsparse_diag_type_20rocsparse_direction_.has_indirect_call, 0
	.section	.AMDGPU.csdata,"",@progbits
; Kernel info:
; codeLenInByte = 1600
; TotalNumSgprs: 38
; NumVgprs: 18
; ScratchSize: 0
; MemoryBound: 0
; FloatMode: 240
; IeeeMode: 1
; LDSByteSize: 0 bytes/workgroup (compile time only)
; SGPRBlocks: 0
; VGPRBlocks: 1
; NumSGPRsForWavesPerEU: 38
; NumVGPRsForWavesPerEU: 18
; NamedBarCnt: 0
; Occupancy: 16
; WaveLimiterHint : 1
; COMPUTE_PGM_RSRC2:SCRATCH_EN: 0
; COMPUTE_PGM_RSRC2:USER_SGPR: 2
; COMPUTE_PGM_RSRC2:TRAP_HANDLER: 0
; COMPUTE_PGM_RSRC2:TGID_X_EN: 1
; COMPUTE_PGM_RSRC2:TGID_Y_EN: 0
; COMPUTE_PGM_RSRC2:TGID_Z_EN: 0
; COMPUTE_PGM_RSRC2:TIDIG_COMP_CNT: 0
	.section	.text._ZN9rocsparseL24bsrsm_lower_large_kernelILj128ELj16ELb0EdEEviiPKiS2_PKT2_iPS3_iPiS2_S7_21rocsparse_index_base_20rocsparse_diag_type_20rocsparse_direction_,"axG",@progbits,_ZN9rocsparseL24bsrsm_lower_large_kernelILj128ELj16ELb0EdEEviiPKiS2_PKT2_iPS3_iPiS2_S7_21rocsparse_index_base_20rocsparse_diag_type_20rocsparse_direction_,comdat
	.globl	_ZN9rocsparseL24bsrsm_lower_large_kernelILj128ELj16ELb0EdEEviiPKiS2_PKT2_iPS3_iPiS2_S7_21rocsparse_index_base_20rocsparse_diag_type_20rocsparse_direction_ ; -- Begin function _ZN9rocsparseL24bsrsm_lower_large_kernelILj128ELj16ELb0EdEEviiPKiS2_PKT2_iPS3_iPiS2_S7_21rocsparse_index_base_20rocsparse_diag_type_20rocsparse_direction_
	.p2align	8
	.type	_ZN9rocsparseL24bsrsm_lower_large_kernelILj128ELj16ELb0EdEEviiPKiS2_PKT2_iPS3_iPiS2_S7_21rocsparse_index_base_20rocsparse_diag_type_20rocsparse_direction_,@function
_ZN9rocsparseL24bsrsm_lower_large_kernelILj128ELj16ELb0EdEEviiPKiS2_PKT2_iPS3_iPiS2_S7_21rocsparse_index_base_20rocsparse_diag_type_20rocsparse_direction_: ; @_ZN9rocsparseL24bsrsm_lower_large_kernelILj128ELj16ELb0EdEEviiPKiS2_PKT2_iPS3_iPiS2_S7_21rocsparse_index_base_20rocsparse_diag_type_20rocsparse_direction_
; %bb.0:
	s_clause 0x1
	s_load_b64 s[24:25], s[0:1], 0x0
	s_load_b128 s[8:11], s[0:1], 0x8
	s_bfe_u32 s4, ttmp6, 0x4000c
	s_and_b32 s3, ttmp6, 15
	s_add_co_i32 s4, s4, 1
	s_getreg_b32 s5, hwreg(HW_REG_IB_STS2, 6, 4)
	s_mul_i32 s4, ttmp9, s4
	v_dual_lshrrev_b32 v4, 3, v0 :: v_dual_bitop2_b32 v5, 7, v0 bitop3:0x40
	s_add_co_i32 s3, s3, s4
	s_wait_kmcnt 0x0
	s_cvt_f32_u32 s2, s24
	s_sub_co_i32 s6, 0, s24
	s_delay_alu instid0(SALU_CYCLE_2) | instskip(SKIP_1) | instid1(TRANS32_DEP_1)
	v_rcp_iflag_f32_e32 v1, s2
	v_nop
	v_readfirstlane_b32 s2, v1
	s_mul_f32 s2, s2, 0x4f7ffffe
	s_delay_alu instid0(SALU_CYCLE_3) | instskip(NEXT) | instid1(SALU_CYCLE_3)
	s_cvt_u32_f32 s2, s2
	s_mul_i32 s6, s6, s2
	s_delay_alu instid0(SALU_CYCLE_1) | instskip(NEXT) | instid1(SALU_CYCLE_1)
	s_mul_hi_u32 s6, s2, s6
	s_add_co_i32 s2, s2, s6
	s_cmp_eq_u32 s5, 0
	s_load_b128 s[4:7], s[0:1], 0x38
	s_cselect_b32 s3, ttmp9, s3
	s_delay_alu instid0(SALU_CYCLE_1) | instskip(NEXT) | instid1(SALU_CYCLE_1)
	s_mul_hi_u32 s2, s3, s2
	s_mul_i32 s12, s2, s24
	s_add_co_i32 s13, s2, 1
	s_sub_co_i32 s12, s3, s12
	s_delay_alu instid0(SALU_CYCLE_1)
	s_sub_co_i32 s14, s12, s24
	s_cmp_ge_u32 s12, s24
	s_cselect_b32 s2, s13, s2
	s_cselect_b32 s12, s14, s12
	s_add_co_i32 s13, s2, 1
	s_cmp_ge_u32 s12, s24
	s_cselect_b32 s19, s13, s2
	s_delay_alu instid0(SALU_CYCLE_1) | instskip(SKIP_4) | instid1(SALU_CYCLE_1)
	s_mul_i32 s15, s19, s24
	s_lshl_b32 s19, s19, 4
	s_sub_co_i32 s2, s3, s15
	v_or_b32_e32 v1, s19, v4
	s_ashr_i32 s3, s2, 31
	s_lshl_b64 s[12:13], s[2:3], 2
	s_load_b64 s[2:3], s[0:1], 0x48
	s_wait_kmcnt 0x0
	s_add_nc_u64 s[6:7], s[6:7], s[12:13]
	v_cmp_gt_i32_e32 vcc_lo, s25, v1
	s_load_b32 s6, s[6:7], 0x0
	s_wait_kmcnt 0x0
	s_ashr_i32 s7, s6, 31
	s_delay_alu instid0(SALU_CYCLE_1) | instskip(NEXT) | instid1(SALU_CYCLE_1)
	s_lshl_b64 s[12:13], s[6:7], 2
	s_add_nc_u64 s[26:27], s[8:9], s[12:13]
	s_load_b96 s[12:14], s[0:1], 0x50
	s_load_b64 s[8:9], s[26:27], 0x0
	s_clause 0x1
	s_load_b96 s[16:18], s[0:1], 0x18
	s_load_b96 s[20:22], s[0:1], 0x28
	s_wait_xcnt 0x0
	v_cmp_eq_u32_e64 s0, 0, v0
	s_wait_kmcnt 0x0
	s_sub_co_i32 s23, s8, s12
	s_cmp_ge_i32 s8, s9
	s_mul_i32 s7, s6, s18
	s_mul_i32 s26, s18, s18
	s_cbranch_scc1 .LBB25_18
; %bb.1:
	v_mad_u32 v2, s18, s23, v5
	v_cmp_gt_i32_e64 s1, s18, v5
	s_sub_co_i32 s27, s9, s12
	v_mov_b32_e32 v7, 0
	s_cmp_lg_u32 s14, 0
	s_mul_i32 s30, s22, s18
	s_cselect_b32 s28, -1, 0
	s_and_b32 s29, vcc_lo, s1
	s_lshl_b32 s31, s18, 3
	v_mul_lo_u32 v6, s18, v2
	s_branch .LBB25_3
.LBB25_2:                               ;   in Loop: Header=BB25_3 Depth=1
                                        ; implicit-def: $vgpr6
	s_and_b32 vcc_lo, exec_lo, s8
	s_cbranch_vccnz .LBB25_19
.LBB25_3:                               ; =>This Loop Header: Depth=1
                                        ;     Child Loop BB25_7 Depth 2
                                        ;     Child Loop BB25_11 Depth 2
                                        ;       Child Loop BB25_13 Depth 3
	s_wait_xcnt 0x0
	v_mov_b32_e32 v2, s23
	s_mov_b32 s8, -1
	global_load_b32 v2, v2, s[10:11] scale_offset
	s_wait_loadcnt 0x0
	v_readfirstlane_b32 s1, v2
	s_sub_co_i32 s1, s1, s12
	s_delay_alu instid0(SALU_CYCLE_1)
	s_cmp_ge_i32 s1, s6
	s_cbranch_scc1 .LBB25_2
; %bb.4:                                ;   in Loop: Header=BB25_3 Depth=1
	s_wait_xcnt 0x0
	s_and_saveexec_b32 s33, s0
	s_cbranch_execz .LBB25_8
; %bb.5:                                ;   in Loop: Header=BB25_3 Depth=1
	s_add_co_i32 s8, s1, s15
	s_delay_alu instid0(SALU_CYCLE_1)
	v_mov_b32_e32 v2, s8
	global_load_b32 v2, v2, s[4:5] scale_offset scope:SCOPE_DEV
	s_wait_loadcnt 0x0
	v_cmp_ne_u32_e32 vcc_lo, 0, v2
	s_cbranch_vccnz .LBB25_8
; %bb.6:                                ;   in Loop: Header=BB25_3 Depth=1
	s_ashr_i32 s9, s8, 31
	s_delay_alu instid0(SALU_CYCLE_1) | instskip(NEXT) | instid1(SALU_CYCLE_1)
	s_lshl_b64 s[8:9], s[8:9], 2
	s_add_nc_u64 s[8:9], s[4:5], s[8:9]
.LBB25_7:                               ;   Parent Loop BB25_3 Depth=1
                                        ; =>  This Inner Loop Header: Depth=2
	global_load_b32 v2, v7, s[8:9] scope:SCOPE_DEV
	s_wait_loadcnt 0x0
	v_cmp_eq_u32_e32 vcc_lo, 0, v2
	s_cbranch_vccnz .LBB25_7
.LBB25_8:                               ;   in Loop: Header=BB25_3 Depth=1
	s_wait_xcnt 0x0
	s_or_b32 exec_lo, exec_lo, s33
	global_wb scope:SCOPE_DEV
	s_wait_storecnt 0x0
	global_inv scope:SCOPE_DEV
	s_wait_loadcnt 0x0
	s_barrier_signal -1
	s_barrier_wait -1
	s_and_saveexec_b32 s8, s29
	s_cbranch_execz .LBB25_17
; %bb.9:                                ;   in Loop: Header=BB25_3 Depth=1
	v_mad_u32 v8, s30, s1, v1
	v_dual_mov_b32 v9, v6 :: v_dual_mov_b32 v10, v5
	s_mul_i32 s9, s23, s18
	s_mov_b32 s33, 0
	s_branch .LBB25_11
.LBB25_10:                              ;   in Loop: Header=BB25_11 Depth=2
	v_dual_add_nc_u32 v11, s7, v10 :: v_dual_add_nc_u32 v10, 8, v10
	v_add_nc_u32_e32 v9, s31, v9
	s_delay_alu instid0(VALU_DEP_2) | instskip(NEXT) | instid1(VALU_DEP_3)
	v_mad_u32 v11, v11, s22, v1
	v_cmp_le_i32_e32 vcc_lo, s18, v10
	s_or_b32 s33, vcc_lo, s33
	global_load_b64 v[12:13], v11, s[20:21] scale_offset
	s_wait_loadcnt 0x0
	v_add_f64_e64 v[2:3], v[12:13], -v[2:3]
	global_store_b64 v11, v[2:3], s[20:21] scale_offset
	s_wait_xcnt 0x0
	s_and_not1_b32 exec_lo, exec_lo, s33
	s_cbranch_execz .LBB25_17
.LBB25_11:                              ;   Parent Loop BB25_3 Depth=1
                                        ; =>  This Loop Header: Depth=2
                                        ;       Child Loop BB25_13 Depth 3
	v_mov_b64_e32 v[2:3], 0
	s_delay_alu instid0(VALU_DEP_3)
	v_mov_b32_e32 v11, v8
	s_mov_b32 s34, 0
	s_branch .LBB25_13
.LBB25_12:                              ;   in Loop: Header=BB25_13 Depth=3
	global_load_b64 v[14:15], v12, s[16:17] scale_offset
	global_load_b64 v[16:17], v11, s[20:21] scale_offset
	s_wait_xcnt 0x0
	v_add_nc_u32_e32 v11, s22, v11
	s_add_co_i32 s34, s34, 1
	s_delay_alu instid0(SALU_CYCLE_1)
	s_cmp_eq_u32 s18, s34
	s_wait_loadcnt 0x0
	v_fmac_f64_e32 v[2:3], v[14:15], v[16:17]
	s_cbranch_scc1 .LBB25_10
.LBB25_13:                              ;   Parent Loop BB25_3 Depth=1
                                        ;     Parent Loop BB25_11 Depth=2
                                        ; =>    This Inner Loop Header: Depth=3
	s_and_b32 vcc_lo, exec_lo, s28
	s_cbranch_vccz .LBB25_15
; %bb.14:                               ;   in Loop: Header=BB25_13 Depth=3
	s_add_co_i32 s35, s34, s9
	s_delay_alu instid0(SALU_CYCLE_1)
	v_mad_u32 v12, s35, s18, v10
	s_cbranch_execnz .LBB25_12
	s_branch .LBB25_16
.LBB25_15:                              ;   in Loop: Header=BB25_13 Depth=3
                                        ; implicit-def: $vgpr12
.LBB25_16:                              ;   in Loop: Header=BB25_13 Depth=3
	v_add_nc_u32_e32 v12, s34, v9
	s_branch .LBB25_12
.LBB25_17:                              ;   in Loop: Header=BB25_3 Depth=1
	s_or_b32 exec_lo, exec_lo, s8
	s_add_co_i32 s23, s23, 1
	v_add_nc_u32_e32 v6, s26, v6
	s_cmp_ge_i32 s23, s27
	s_cselect_b32 s8, -1, 0
	s_delay_alu instid0(SALU_CYCLE_1)
	s_and_b32 vcc_lo, exec_lo, s8
	s_cbranch_vccz .LBB25_3
	s_branch .LBB25_19
.LBB25_18:
	s_mov_b32 s1, s24
.LBB25_19:
	s_cmp_lt_i32 s6, s24
	v_cmp_gt_i32_e32 vcc_lo, s25, v1
	s_cselect_b32 s0, -1, 0
	s_cmp_eq_u32 s6, s1
	s_cselect_b32 s1, -1, 0
	s_delay_alu instid0(SALU_CYCLE_1) | instskip(SKIP_2) | instid1(SALU_CYCLE_1)
	s_and_b32 s1, vcc_lo, s1
	s_cmp_gt_i32 s18, 0
	s_cselect_b32 s8, -1, 0
	s_and_b32 s1, s1, s8
	s_mov_b32 s8, 0
	s_and_b32 s9, s1, s0
	s_wait_xcnt 0x0
	s_and_saveexec_b32 s1, s9
	s_cbranch_execz .LBB25_34
; %bb.20:
	v_dual_add_nc_u32 v2, s7, v5 :: v_dual_add_nc_u32 v8, 1, v5
	s_cmp_eq_u32 s13, 0
	s_mul_i32 s10, s23, s18
	s_cselect_b32 s9, -1, 0
	s_delay_alu instid0(VALU_DEP_1)
	v_mad_u32 v2, s22, v2, s22
	s_cmp_lg_u32 s14, 0
	s_mul_i32 s14, s23, s26
	s_cselect_b32 s11, -1, 0
	s_lshl_b32 s13, s22, 3
	s_mov_b32 s23, 0
	s_delay_alu instid0(VALU_DEP_1)
	v_add3_u32 v9, v4, v2, s19
	s_add_co_i32 s19, s18, 1
	s_branch .LBB25_22
.LBB25_21:                              ;   in Loop: Header=BB25_22 Depth=1
	s_or_b32 exec_lo, exec_lo, s24
	v_add_nc_u32_e32 v9, s22, v9
	s_add_co_i32 s8, s8, 1
	s_add_co_i32 s14, s14, s19
	s_cmp_eq_u32 s8, s18
	s_cbranch_scc1 .LBB25_33
.LBB25_22:                              ; =>This Loop Header: Depth=1
                                        ;     Child Loop BB25_29 Depth 2
	v_mov_b64_e32 v[4:5], 1.0
	s_and_not1_b32 vcc_lo, exec_lo, s9
	s_cbranch_vccnz .LBB25_24
; %bb.23:                               ;   in Loop: Header=BB25_22 Depth=1
	s_add_co_i32 s24, s8, s10
	s_delay_alu instid0(SALU_CYCLE_1) | instskip(NEXT) | instid1(SALU_CYCLE_1)
	s_mul_i32 s24, s24, s18
	s_add_co_i32 s24, s24, s8
	s_wait_loadcnt 0x0
	v_mov_b32_e32 v2, s24
	global_load_b64 v[4:5], v2, s[16:17] scale_offset
.LBB25_24:                              ;   in Loop: Header=BB25_22 Depth=1
	s_add_co_i32 s24, s8, s7
	s_wait_loadcnt 0x0
	s_delay_alu instid0(VALU_DEP_1)
	v_cmp_eq_f64_e32 vcc_lo, 0, v[4:5]
	v_mad_u32 v6, s24, s22, v1
	global_load_b64 v[2:3], v6, s[20:21] scale_offset
	s_cbranch_vccnz .LBB25_26
; %bb.25:                               ;   in Loop: Header=BB25_22 Depth=1
	s_wait_loadcnt 0x0
	v_div_scale_f64 v[10:11], null, v[4:5], v[4:5], v[2:3]
	v_ashrrev_i32_e32 v7, 31, v6
	s_delay_alu instid0(VALU_DEP_2) | instskip(SKIP_1) | instid1(TRANS32_DEP_1)
	v_rcp_f64_e32 v[12:13], v[10:11]
	v_nop
	v_fma_f64 v[14:15], -v[10:11], v[12:13], 1.0
	s_delay_alu instid0(VALU_DEP_1) | instskip(NEXT) | instid1(VALU_DEP_1)
	v_fmac_f64_e32 v[12:13], v[12:13], v[14:15]
	v_fma_f64 v[14:15], -v[10:11], v[12:13], 1.0
	s_delay_alu instid0(VALU_DEP_1) | instskip(SKIP_1) | instid1(VALU_DEP_1)
	v_fmac_f64_e32 v[12:13], v[12:13], v[14:15]
	v_div_scale_f64 v[14:15], vcc_lo, v[2:3], v[4:5], v[2:3]
	v_mul_f64_e32 v[16:17], v[14:15], v[12:13]
	s_delay_alu instid0(VALU_DEP_1) | instskip(NEXT) | instid1(VALU_DEP_1)
	v_fma_f64 v[10:11], -v[10:11], v[16:17], v[14:15]
	v_div_fmas_f64 v[10:11], v[10:11], v[12:13], v[16:17]
	s_delay_alu instid0(VALU_DEP_1)
	v_div_fixup_f64 v[2:3], v[10:11], v[4:5], v[2:3]
	v_lshl_add_u64 v[4:5], v[6:7], 3, s[20:21]
	global_store_b64 v[4:5], v[2:3], off
	s_wait_xcnt 0x0
	v_add_nc_u32_e32 v4, s8, v8
	s_mov_b32 s24, exec_lo
	s_delay_alu instid0(VALU_DEP_1)
	v_cmpx_gt_i32_e64 s18, v4
	s_cbranch_execz .LBB25_21
	s_branch .LBB25_27
.LBB25_26:                              ;   in Loop: Header=BB25_22 Depth=1
	s_mov_b32 s23, -1
	v_add_nc_u32_e32 v4, s8, v8
	s_mov_b32 s24, exec_lo
	s_wait_xcnt 0x0
	s_delay_alu instid0(VALU_DEP_1)
	v_cmpx_gt_i32_e64 s18, v4
	s_cbranch_execz .LBB25_21
.LBB25_27:                              ;   in Loop: Header=BB25_22 Depth=1
	v_dual_mov_b32 v5, v9 :: v_dual_mov_b32 v6, v8
	s_mov_b32 s25, 0
	s_branch .LBB25_29
.LBB25_28:                              ;   in Loop: Header=BB25_29 Depth=2
	global_load_b64 v[10:11], v7, s[16:17] scale_offset
	global_load_b64 v[12:13], v5, s[20:21] scale_offset
	v_dual_add_nc_u32 v6, 8, v6 :: v_dual_add_nc_u32 v4, 8, v4
	s_wait_loadcnt 0x0
	v_fma_f64 v[10:11], -v[2:3], v[10:11], v[12:13]
	global_store_b64 v5, v[10:11], s[20:21] scale_offset
	s_wait_xcnt 0x0
	v_dual_add_nc_u32 v5, s13, v5 :: v_dual_add_nc_u32 v7, s8, v6
	s_delay_alu instid0(VALU_DEP_1) | instskip(SKIP_1) | instid1(SALU_CYCLE_1)
	v_cmp_le_i32_e32 vcc_lo, s18, v7
	s_or_b32 s25, vcc_lo, s25
	s_and_not1_b32 exec_lo, exec_lo, s25
	s_cbranch_execz .LBB25_21
.LBB25_29:                              ;   Parent Loop BB25_22 Depth=1
                                        ; =>  This Inner Loop Header: Depth=2
	s_and_b32 vcc_lo, exec_lo, s11
	s_cbranch_vccz .LBB25_31
; %bb.30:                               ;   in Loop: Header=BB25_29 Depth=2
	v_add_nc_u32_e32 v7, s14, v6
	s_cbranch_execnz .LBB25_28
	s_branch .LBB25_32
.LBB25_31:                              ;   in Loop: Header=BB25_29 Depth=2
                                        ; implicit-def: $vgpr7
.LBB25_32:                              ;   in Loop: Header=BB25_29 Depth=2
	v_add_nc_u32_e32 v7, s10, v4
	s_delay_alu instid0(VALU_DEP_1)
	v_mad_u32 v7, v7, s18, s8
	s_branch .LBB25_28
.LBB25_33:
	s_and_b32 s8, s23, exec_lo
.LBB25_34:
	s_or_b32 exec_lo, exec_lo, s1
	v_cmp_eq_u32_e32 vcc_lo, 0, v0
	global_wb scope:SCOPE_DEV
	s_wait_loadcnt 0x0
	s_wait_storecnt 0x0
	global_inv scope:SCOPE_DEV
	s_wait_loadcnt 0x0
	s_barrier_signal -1
	s_barrier_wait -1
	s_and_b32 s0, vcc_lo, s0
	s_delay_alu instid0(SALU_CYCLE_1)
	s_and_saveexec_b32 s1, s0
	s_cbranch_execz .LBB25_38
; %bb.35:
	s_add_co_i32 s0, s6, s15
	s_delay_alu instid0(SALU_CYCLE_1)
	v_dual_mov_b32 v0, 1 :: v_dual_mov_b32 v1, s0
	global_store_b32 v1, v0, s[4:5] scale_offset scope:SCOPE_DEV
	s_wait_xcnt 0x0
	s_and_b32 exec_lo, exec_lo, s8
	s_cbranch_execz .LBB25_38
; %bb.36:
	v_mbcnt_lo_u32_b32 v0, exec_lo, 0
	s_delay_alu instid0(VALU_DEP_1)
	v_cmp_eq_u32_e32 vcc_lo, 0, v0
	s_and_b32 exec_lo, exec_lo, vcc_lo
	s_cbranch_execz .LBB25_38
; %bb.37:
	s_add_co_i32 s0, s6, s12
	s_delay_alu instid0(SALU_CYCLE_1)
	v_dual_mov_b32 v0, 0 :: v_dual_mov_b32 v1, s0
	global_atomic_min_i32 v0, v1, s[2:3] scope:SCOPE_DEV
.LBB25_38:
	s_endpgm
	.section	.rodata,"a",@progbits
	.p2align	6, 0x0
	.amdhsa_kernel _ZN9rocsparseL24bsrsm_lower_large_kernelILj128ELj16ELb0EdEEviiPKiS2_PKT2_iPS3_iPiS2_S7_21rocsparse_index_base_20rocsparse_diag_type_20rocsparse_direction_
		.amdhsa_group_segment_fixed_size 0
		.amdhsa_private_segment_fixed_size 0
		.amdhsa_kernarg_size 92
		.amdhsa_user_sgpr_count 2
		.amdhsa_user_sgpr_dispatch_ptr 0
		.amdhsa_user_sgpr_queue_ptr 0
		.amdhsa_user_sgpr_kernarg_segment_ptr 1
		.amdhsa_user_sgpr_dispatch_id 0
		.amdhsa_user_sgpr_kernarg_preload_length 0
		.amdhsa_user_sgpr_kernarg_preload_offset 0
		.amdhsa_user_sgpr_private_segment_size 0
		.amdhsa_wavefront_size32 1
		.amdhsa_uses_dynamic_stack 0
		.amdhsa_enable_private_segment 0
		.amdhsa_system_sgpr_workgroup_id_x 1
		.amdhsa_system_sgpr_workgroup_id_y 0
		.amdhsa_system_sgpr_workgroup_id_z 0
		.amdhsa_system_sgpr_workgroup_info 0
		.amdhsa_system_vgpr_workitem_id 0
		.amdhsa_next_free_vgpr 18
		.amdhsa_next_free_sgpr 36
		.amdhsa_named_barrier_count 0
		.amdhsa_reserve_vcc 1
		.amdhsa_float_round_mode_32 0
		.amdhsa_float_round_mode_16_64 0
		.amdhsa_float_denorm_mode_32 3
		.amdhsa_float_denorm_mode_16_64 3
		.amdhsa_fp16_overflow 0
		.amdhsa_memory_ordered 1
		.amdhsa_forward_progress 1
		.amdhsa_inst_pref_size 13
		.amdhsa_round_robin_scheduling 0
		.amdhsa_exception_fp_ieee_invalid_op 0
		.amdhsa_exception_fp_denorm_src 0
		.amdhsa_exception_fp_ieee_div_zero 0
		.amdhsa_exception_fp_ieee_overflow 0
		.amdhsa_exception_fp_ieee_underflow 0
		.amdhsa_exception_fp_ieee_inexact 0
		.amdhsa_exception_int_div_zero 0
	.end_amdhsa_kernel
	.section	.text._ZN9rocsparseL24bsrsm_lower_large_kernelILj128ELj16ELb0EdEEviiPKiS2_PKT2_iPS3_iPiS2_S7_21rocsparse_index_base_20rocsparse_diag_type_20rocsparse_direction_,"axG",@progbits,_ZN9rocsparseL24bsrsm_lower_large_kernelILj128ELj16ELb0EdEEviiPKiS2_PKT2_iPS3_iPiS2_S7_21rocsparse_index_base_20rocsparse_diag_type_20rocsparse_direction_,comdat
.Lfunc_end25:
	.size	_ZN9rocsparseL24bsrsm_lower_large_kernelILj128ELj16ELb0EdEEviiPKiS2_PKT2_iPS3_iPiS2_S7_21rocsparse_index_base_20rocsparse_diag_type_20rocsparse_direction_, .Lfunc_end25-_ZN9rocsparseL24bsrsm_lower_large_kernelILj128ELj16ELb0EdEEviiPKiS2_PKT2_iPS3_iPiS2_S7_21rocsparse_index_base_20rocsparse_diag_type_20rocsparse_direction_
                                        ; -- End function
	.set _ZN9rocsparseL24bsrsm_lower_large_kernelILj128ELj16ELb0EdEEviiPKiS2_PKT2_iPS3_iPiS2_S7_21rocsparse_index_base_20rocsparse_diag_type_20rocsparse_direction_.num_vgpr, 18
	.set _ZN9rocsparseL24bsrsm_lower_large_kernelILj128ELj16ELb0EdEEviiPKiS2_PKT2_iPS3_iPiS2_S7_21rocsparse_index_base_20rocsparse_diag_type_20rocsparse_direction_.num_agpr, 0
	.set _ZN9rocsparseL24bsrsm_lower_large_kernelILj128ELj16ELb0EdEEviiPKiS2_PKT2_iPS3_iPiS2_S7_21rocsparse_index_base_20rocsparse_diag_type_20rocsparse_direction_.numbered_sgpr, 36
	.set _ZN9rocsparseL24bsrsm_lower_large_kernelILj128ELj16ELb0EdEEviiPKiS2_PKT2_iPS3_iPiS2_S7_21rocsparse_index_base_20rocsparse_diag_type_20rocsparse_direction_.num_named_barrier, 0
	.set _ZN9rocsparseL24bsrsm_lower_large_kernelILj128ELj16ELb0EdEEviiPKiS2_PKT2_iPS3_iPiS2_S7_21rocsparse_index_base_20rocsparse_diag_type_20rocsparse_direction_.private_seg_size, 0
	.set _ZN9rocsparseL24bsrsm_lower_large_kernelILj128ELj16ELb0EdEEviiPKiS2_PKT2_iPS3_iPiS2_S7_21rocsparse_index_base_20rocsparse_diag_type_20rocsparse_direction_.uses_vcc, 1
	.set _ZN9rocsparseL24bsrsm_lower_large_kernelILj128ELj16ELb0EdEEviiPKiS2_PKT2_iPS3_iPiS2_S7_21rocsparse_index_base_20rocsparse_diag_type_20rocsparse_direction_.uses_flat_scratch, 0
	.set _ZN9rocsparseL24bsrsm_lower_large_kernelILj128ELj16ELb0EdEEviiPKiS2_PKT2_iPS3_iPiS2_S7_21rocsparse_index_base_20rocsparse_diag_type_20rocsparse_direction_.has_dyn_sized_stack, 0
	.set _ZN9rocsparseL24bsrsm_lower_large_kernelILj128ELj16ELb0EdEEviiPKiS2_PKT2_iPS3_iPiS2_S7_21rocsparse_index_base_20rocsparse_diag_type_20rocsparse_direction_.has_recursion, 0
	.set _ZN9rocsparseL24bsrsm_lower_large_kernelILj128ELj16ELb0EdEEviiPKiS2_PKT2_iPS3_iPiS2_S7_21rocsparse_index_base_20rocsparse_diag_type_20rocsparse_direction_.has_indirect_call, 0
	.section	.AMDGPU.csdata,"",@progbits
; Kernel info:
; codeLenInByte = 1616
; TotalNumSgprs: 38
; NumVgprs: 18
; ScratchSize: 0
; MemoryBound: 0
; FloatMode: 240
; IeeeMode: 1
; LDSByteSize: 0 bytes/workgroup (compile time only)
; SGPRBlocks: 0
; VGPRBlocks: 1
; NumSGPRsForWavesPerEU: 38
; NumVGPRsForWavesPerEU: 18
; NamedBarCnt: 0
; Occupancy: 16
; WaveLimiterHint : 1
; COMPUTE_PGM_RSRC2:SCRATCH_EN: 0
; COMPUTE_PGM_RSRC2:USER_SGPR: 2
; COMPUTE_PGM_RSRC2:TRAP_HANDLER: 0
; COMPUTE_PGM_RSRC2:TGID_X_EN: 1
; COMPUTE_PGM_RSRC2:TGID_Y_EN: 0
; COMPUTE_PGM_RSRC2:TGID_Z_EN: 0
; COMPUTE_PGM_RSRC2:TIDIG_COMP_CNT: 0
	.section	.text._ZN9rocsparseL24bsrsm_upper_large_kernelILj256ELj16ELb0EdEEviiPKiS2_PKT2_iPS3_iPiS2_S7_21rocsparse_index_base_20rocsparse_diag_type_20rocsparse_direction_,"axG",@progbits,_ZN9rocsparseL24bsrsm_upper_large_kernelILj256ELj16ELb0EdEEviiPKiS2_PKT2_iPS3_iPiS2_S7_21rocsparse_index_base_20rocsparse_diag_type_20rocsparse_direction_,comdat
	.globl	_ZN9rocsparseL24bsrsm_upper_large_kernelILj256ELj16ELb0EdEEviiPKiS2_PKT2_iPS3_iPiS2_S7_21rocsparse_index_base_20rocsparse_diag_type_20rocsparse_direction_ ; -- Begin function _ZN9rocsparseL24bsrsm_upper_large_kernelILj256ELj16ELb0EdEEviiPKiS2_PKT2_iPS3_iPiS2_S7_21rocsparse_index_base_20rocsparse_diag_type_20rocsparse_direction_
	.p2align	8
	.type	_ZN9rocsparseL24bsrsm_upper_large_kernelILj256ELj16ELb0EdEEviiPKiS2_PKT2_iPS3_iPiS2_S7_21rocsparse_index_base_20rocsparse_diag_type_20rocsparse_direction_,@function
_ZN9rocsparseL24bsrsm_upper_large_kernelILj256ELj16ELb0EdEEviiPKiS2_PKT2_iPS3_iPiS2_S7_21rocsparse_index_base_20rocsparse_diag_type_20rocsparse_direction_: ; @_ZN9rocsparseL24bsrsm_upper_large_kernelILj256ELj16ELb0EdEEviiPKiS2_PKT2_iPS3_iPiS2_S7_21rocsparse_index_base_20rocsparse_diag_type_20rocsparse_direction_
; %bb.0:
	s_clause 0x1
	s_load_b64 s[24:25], s[0:1], 0x0
	s_load_b128 s[8:11], s[0:1], 0x8
	s_bfe_u32 s4, ttmp6, 0x4000c
	s_and_b32 s3, ttmp6, 15
	s_add_co_i32 s4, s4, 1
	s_getreg_b32 s5, hwreg(HW_REG_IB_STS2, 6, 4)
	s_mul_i32 s4, ttmp9, s4
	v_dual_lshrrev_b32 v4, 4, v0 :: v_dual_bitop2_b32 v8, 15, v0 bitop3:0x40
	s_add_co_i32 s3, s3, s4
	s_wait_kmcnt 0x0
	s_cvt_f32_u32 s2, s24
	s_sub_co_i32 s6, 0, s24
	s_delay_alu instid0(SALU_CYCLE_2) | instskip(SKIP_1) | instid1(TRANS32_DEP_1)
	v_rcp_iflag_f32_e32 v1, s2
	v_nop
	v_readfirstlane_b32 s2, v1
	s_mul_f32 s2, s2, 0x4f7ffffe
	s_delay_alu instid0(SALU_CYCLE_3) | instskip(NEXT) | instid1(SALU_CYCLE_3)
	s_cvt_u32_f32 s2, s2
	s_mul_i32 s6, s6, s2
	s_delay_alu instid0(SALU_CYCLE_1) | instskip(NEXT) | instid1(SALU_CYCLE_1)
	s_mul_hi_u32 s6, s2, s6
	s_add_co_i32 s2, s2, s6
	s_cmp_eq_u32 s5, 0
	s_load_b128 s[4:7], s[0:1], 0x38
	s_cselect_b32 s3, ttmp9, s3
	s_delay_alu instid0(SALU_CYCLE_1) | instskip(NEXT) | instid1(SALU_CYCLE_1)
	s_mul_hi_u32 s2, s3, s2
	s_mul_i32 s12, s2, s24
	s_add_co_i32 s13, s2, 1
	s_sub_co_i32 s12, s3, s12
	s_delay_alu instid0(SALU_CYCLE_1)
	s_sub_co_i32 s14, s12, s24
	s_cmp_ge_u32 s12, s24
	s_cselect_b32 s2, s13, s2
	s_cselect_b32 s12, s14, s12
	s_add_co_i32 s13, s2, 1
	s_cmp_ge_u32 s12, s24
	s_cselect_b32 s19, s13, s2
	s_delay_alu instid0(SALU_CYCLE_1) | instskip(SKIP_4) | instid1(SALU_CYCLE_1)
	s_mul_i32 s15, s19, s24
	s_lshl_b32 s19, s19, 4
	s_sub_co_i32 s2, s3, s15
	v_or_b32_e32 v1, s19, v4
	s_ashr_i32 s3, s2, 31
	s_lshl_b64 s[12:13], s[2:3], 2
	s_load_b64 s[2:3], s[0:1], 0x48
	s_wait_kmcnt 0x0
	s_add_nc_u64 s[6:7], s[6:7], s[12:13]
	s_load_b96 s[12:14], s[0:1], 0x50
	v_cmp_gt_i32_e32 vcc_lo, s25, v1
	s_load_b32 s6, s[6:7], 0x0
	s_wait_kmcnt 0x0
	s_ashr_i32 s7, s6, 31
	s_delay_alu instid0(SALU_CYCLE_1) | instskip(NEXT) | instid1(SALU_CYCLE_1)
	s_lshl_b64 s[16:17], s[6:7], 2
	s_add_nc_u64 s[8:9], s[8:9], s[16:17]
	s_load_b64 s[26:27], s[8:9], 0x0
	s_clause 0x1
	s_load_b96 s[16:18], s[0:1], 0x18
	s_load_b96 s[20:22], s[0:1], 0x28
	s_wait_xcnt 0x0
	s_not_b32 s0, s12
	s_wait_kmcnt 0x0
	s_add_co_i32 s23, s27, s0
	v_cmp_eq_u32_e64 s0, 0, v0
	s_sub_co_i32 s26, s26, s12
	s_mul_i32 s7, s6, s18
	s_cmp_lt_i32 s23, s26
	s_cbranch_scc1 .LBB26_18
; %bb.1:
	v_mad_u32 v2, s18, s23, v8
	v_cmp_gt_i32_e64 s1, s18, v8
	v_mov_b32_e32 v6, 0
	s_cmp_lg_u32 s14, 0
	s_mul_i32 s29, s22, s18
	s_cselect_b32 s27, -1, 0
	s_and_b32 s1, vcc_lo, s1
	s_mul_i32 s30, s18, s18
	s_lshl_b32 s31, s18, 4
	v_mul_lo_u32 v5, s18, v2
	s_branch .LBB26_3
.LBB26_2:                               ;   in Loop: Header=BB26_3 Depth=1
                                        ; implicit-def: $vgpr5
	s_cbranch_execnz .LBB26_19
.LBB26_3:                               ; =>This Loop Header: Depth=1
                                        ;     Child Loop BB26_7 Depth 2
                                        ;     Child Loop BB26_11 Depth 2
                                        ;       Child Loop BB26_13 Depth 3
	s_wait_xcnt 0x0
	v_mov_b32_e32 v2, s23
	global_load_b32 v2, v2, s[10:11] scale_offset
	s_wait_loadcnt 0x0
	v_readfirstlane_b32 s8, v2
	s_sub_co_i32 s28, s8, s12
	s_delay_alu instid0(SALU_CYCLE_1)
	s_cmp_le_i32 s28, s6
	s_cbranch_scc1 .LBB26_2
; %bb.4:                                ;   in Loop: Header=BB26_3 Depth=1
	s_wait_xcnt 0x0
	s_and_saveexec_b32 s33, s0
	s_cbranch_execz .LBB26_8
; %bb.5:                                ;   in Loop: Header=BB26_3 Depth=1
	s_add_co_i32 s8, s28, s15
	s_delay_alu instid0(SALU_CYCLE_1)
	v_mov_b32_e32 v2, s8
	global_load_b32 v2, v2, s[4:5] scale_offset scope:SCOPE_DEV
	s_wait_loadcnt 0x0
	v_cmp_ne_u32_e32 vcc_lo, 0, v2
	s_cbranch_vccnz .LBB26_8
; %bb.6:                                ;   in Loop: Header=BB26_3 Depth=1
	s_ashr_i32 s9, s8, 31
	s_delay_alu instid0(SALU_CYCLE_1) | instskip(NEXT) | instid1(SALU_CYCLE_1)
	s_lshl_b64 s[8:9], s[8:9], 2
	s_add_nc_u64 s[8:9], s[4:5], s[8:9]
.LBB26_7:                               ;   Parent Loop BB26_3 Depth=1
                                        ; =>  This Inner Loop Header: Depth=2
	global_load_b32 v2, v6, s[8:9] scope:SCOPE_DEV
	s_wait_loadcnt 0x0
	v_cmp_eq_u32_e32 vcc_lo, 0, v2
	s_cbranch_vccnz .LBB26_7
.LBB26_8:                               ;   in Loop: Header=BB26_3 Depth=1
	s_wait_xcnt 0x0
	s_or_b32 exec_lo, exec_lo, s33
	global_wb scope:SCOPE_DEV
	s_wait_storecnt 0x0
	global_inv scope:SCOPE_DEV
	s_wait_loadcnt 0x0
	s_barrier_signal -1
	s_barrier_wait -1
	s_and_saveexec_b32 s8, s1
	s_cbranch_execz .LBB26_17
; %bb.9:                                ;   in Loop: Header=BB26_3 Depth=1
	v_mad_u32 v7, s29, s28, v1
	v_dual_mov_b32 v9, v5 :: v_dual_mov_b32 v10, v8
	s_mul_i32 s9, s23, s18
	s_mov_b32 s33, 0
	s_branch .LBB26_11
.LBB26_10:                              ;   in Loop: Header=BB26_11 Depth=2
	v_dual_add_nc_u32 v11, s7, v10 :: v_dual_add_nc_u32 v10, 16, v10
	v_add_nc_u32_e32 v9, s31, v9
	s_delay_alu instid0(VALU_DEP_2) | instskip(NEXT) | instid1(VALU_DEP_3)
	v_mad_u32 v11, v11, s22, v1
	v_cmp_le_i32_e32 vcc_lo, s18, v10
	s_or_b32 s33, vcc_lo, s33
	global_load_b64 v[12:13], v11, s[20:21] scale_offset
	s_wait_loadcnt 0x0
	v_add_f64_e64 v[2:3], v[12:13], -v[2:3]
	global_store_b64 v11, v[2:3], s[20:21] scale_offset
	s_wait_xcnt 0x0
	s_and_not1_b32 exec_lo, exec_lo, s33
	s_cbranch_execz .LBB26_17
.LBB26_11:                              ;   Parent Loop BB26_3 Depth=1
                                        ; =>  This Loop Header: Depth=2
                                        ;       Child Loop BB26_13 Depth 3
	v_mov_b64_e32 v[2:3], 0
	s_delay_alu instid0(VALU_DEP_3)
	v_mov_b32_e32 v11, v7
	s_mov_b32 s34, 0
	s_branch .LBB26_13
.LBB26_12:                              ;   in Loop: Header=BB26_13 Depth=3
	global_load_b64 v[14:15], v12, s[16:17] scale_offset
	global_load_b64 v[16:17], v11, s[20:21] scale_offset
	s_wait_xcnt 0x0
	v_add_nc_u32_e32 v11, s22, v11
	s_add_co_i32 s34, s34, 1
	s_delay_alu instid0(SALU_CYCLE_1)
	s_cmp_eq_u32 s18, s34
	s_wait_loadcnt 0x0
	v_fmac_f64_e32 v[2:3], v[14:15], v[16:17]
	s_cbranch_scc1 .LBB26_10
.LBB26_13:                              ;   Parent Loop BB26_3 Depth=1
                                        ;     Parent Loop BB26_11 Depth=2
                                        ; =>    This Inner Loop Header: Depth=3
	s_and_b32 vcc_lo, exec_lo, s27
	s_cbranch_vccz .LBB26_15
; %bb.14:                               ;   in Loop: Header=BB26_13 Depth=3
	s_add_co_i32 s35, s34, s9
	s_delay_alu instid0(SALU_CYCLE_1)
	v_mad_u32 v12, s35, s18, v10
	s_cbranch_execnz .LBB26_12
	s_branch .LBB26_16
.LBB26_15:                              ;   in Loop: Header=BB26_13 Depth=3
                                        ; implicit-def: $vgpr12
.LBB26_16:                              ;   in Loop: Header=BB26_13 Depth=3
	v_add_nc_u32_e32 v12, s34, v9
	s_branch .LBB26_12
.LBB26_17:                              ;   in Loop: Header=BB26_3 Depth=1
	s_or_b32 exec_lo, exec_lo, s8
	s_add_co_i32 s9, s23, -1
	s_cmp_le_i32 s23, s26
	v_subrev_nc_u32_e32 v5, s30, v5
	s_cselect_b32 s8, -1, 0
	s_mov_b32 s23, s9
	s_and_b32 vcc_lo, exec_lo, s8
	s_cbranch_vccz .LBB26_3
	s_branch .LBB26_19
.LBB26_18:
	s_mov_b32 s28, s24
.LBB26_19:
	s_cmp_lt_i32 s6, s24
	v_cmp_gt_i32_e32 vcc_lo, s25, v1
	s_cselect_b32 s0, -1, 0
	s_cmp_eq_u32 s6, s28
	s_cselect_b32 s1, -1, 0
	s_delay_alu instid0(SALU_CYCLE_1) | instskip(SKIP_2) | instid1(SALU_CYCLE_1)
	s_and_b32 s1, vcc_lo, s1
	s_cmp_gt_i32 s18, 0
	s_cselect_b32 s8, -1, 0
	s_and_b32 s1, s1, s8
	s_mov_b32 s8, 0
	s_and_b32 s9, s1, s0
	s_wait_xcnt 0x0
	s_and_saveexec_b32 s1, s9
	s_cbranch_execz .LBB26_35
; %bb.20:
	v_add_nc_u32_e32 v2, s7, v8
	s_cmp_eq_u32 s13, 0
	s_mov_b32 s10, 0
	s_cselect_b32 s8, -1, 0
	s_cmp_lg_u32 s14, 0
	v_mul_lo_u32 v2, s22, v2
	s_cselect_b32 s9, -1, 0
	s_add_co_i32 s11, s23, 1
	s_delay_alu instid0(SALU_CYCLE_1) | instskip(SKIP_4) | instid1(VALU_DEP_1)
	s_mul_i32 s13, s18, s11
	s_mul_i32 s11, s23, s18
	s_add_co_i32 s14, s13, -1
	s_lshl_b32 s13, s22, 4
	s_mul_i32 s14, s18, s14
	v_add3_u32 v9, v4, v2, s19
	s_mov_b32 s19, s18
	v_mov_b64_e32 v[4:5], 1.0
	s_and_not1_b32 vcc_lo, exec_lo, s8
	s_add_co_i32 s23, s19, -1
	s_cbranch_vccnz .LBB26_22
.LBB26_21:
	s_add_co_i32 s24, s23, s11
	s_delay_alu instid0(SALU_CYCLE_1) | instskip(NEXT) | instid1(SALU_CYCLE_1)
	s_mul_i32 s24, s24, s18
	s_add_co_i32 s24, s24, s23
	s_wait_loadcnt 0x0
	v_mov_b32_e32 v2, s24
	global_load_b64 v[4:5], v2, s[16:17] scale_offset
.LBB26_22:                              ; =>This Loop Header: Depth=1
                                        ;     Child Loop BB26_27 Depth 2
	s_add_co_i32 s24, s23, s7
	s_wait_loadcnt 0x0
	s_delay_alu instid0(VALU_DEP_1)
	v_cmp_eq_f64_e32 vcc_lo, 0, v[4:5]
	v_mad_u32 v6, s24, s22, v1
	global_load_b64 v[2:3], v6, s[20:21] scale_offset
	s_cbranch_vccnz .LBB26_24
; %bb.23:                               ;   in Loop: Header=BB26_22 Depth=1
	s_wait_loadcnt 0x0
	v_div_scale_f64 v[10:11], null, v[4:5], v[4:5], v[2:3]
	v_ashrrev_i32_e32 v7, 31, v6
	s_delay_alu instid0(VALU_DEP_2) | instskip(SKIP_1) | instid1(TRANS32_DEP_1)
	v_rcp_f64_e32 v[12:13], v[10:11]
	v_nop
	v_fma_f64 v[14:15], -v[10:11], v[12:13], 1.0
	s_delay_alu instid0(VALU_DEP_1) | instskip(NEXT) | instid1(VALU_DEP_1)
	v_fmac_f64_e32 v[12:13], v[12:13], v[14:15]
	v_fma_f64 v[14:15], -v[10:11], v[12:13], 1.0
	s_delay_alu instid0(VALU_DEP_1) | instskip(SKIP_1) | instid1(VALU_DEP_1)
	v_fmac_f64_e32 v[12:13], v[12:13], v[14:15]
	v_div_scale_f64 v[14:15], vcc_lo, v[2:3], v[4:5], v[2:3]
	v_mul_f64_e32 v[16:17], v[14:15], v[12:13]
	s_delay_alu instid0(VALU_DEP_1) | instskip(NEXT) | instid1(VALU_DEP_1)
	v_fma_f64 v[10:11], -v[10:11], v[16:17], v[14:15]
	v_div_fmas_f64 v[10:11], v[10:11], v[12:13], v[16:17]
	s_delay_alu instid0(VALU_DEP_1)
	v_div_fixup_f64 v[2:3], v[10:11], v[4:5], v[2:3]
	v_lshl_add_u64 v[4:5], v[6:7], 3, s[20:21]
	global_store_b64 v[4:5], v[2:3], off
	s_mov_b32 s24, exec_lo
	s_wait_xcnt 0x0
	v_cmpx_gt_i32_e64 s23, v8
	s_cbranch_execnz .LBB26_25
	s_branch .LBB26_31
.LBB26_24:                              ;   in Loop: Header=BB26_22 Depth=1
	s_mov_b32 s10, -1
	s_mov_b32 s24, exec_lo
	s_wait_xcnt 0x0
	v_cmpx_gt_i32_e64 s23, v8
	s_cbranch_execz .LBB26_31
.LBB26_25:                              ;   in Loop: Header=BB26_22 Depth=1
	v_dual_mov_b32 v4, v9 :: v_dual_mov_b32 v5, v8
	s_mov_b32 s25, 0
	s_branch .LBB26_27
.LBB26_26:                              ;   in Loop: Header=BB26_27 Depth=2
	global_load_b64 v[10:11], v6, s[16:17] scale_offset
	global_load_b64 v[12:13], v4, s[20:21] scale_offset
	v_add_nc_u32_e32 v5, 16, v5
	s_delay_alu instid0(VALU_DEP_1)
	v_cmp_le_i32_e32 vcc_lo, s23, v5
	s_or_b32 s25, vcc_lo, s25
	s_wait_loadcnt 0x0
	s_wait_xcnt 0x1
	v_fma_f64 v[6:7], -v[2:3], v[10:11], v[12:13]
	global_store_b64 v4, v[6:7], s[20:21] scale_offset
	s_wait_xcnt 0x0
	v_add_nc_u32_e32 v4, s13, v4
	s_and_not1_b32 exec_lo, exec_lo, s25
	s_cbranch_execz .LBB26_31
.LBB26_27:                              ;   Parent Loop BB26_22 Depth=1
                                        ; =>  This Inner Loop Header: Depth=2
	s_and_b32 vcc_lo, exec_lo, s9
	s_cbranch_vccz .LBB26_29
; %bb.28:                               ;   in Loop: Header=BB26_27 Depth=2
	v_add_nc_u32_e32 v6, s14, v5
	s_cbranch_execnz .LBB26_26
	s_branch .LBB26_30
.LBB26_29:                              ;   in Loop: Header=BB26_27 Depth=2
                                        ; implicit-def: $vgpr6
.LBB26_30:                              ;   in Loop: Header=BB26_27 Depth=2
	v_add_nc_u32_e32 v6, s11, v5
	s_delay_alu instid0(VALU_DEP_1)
	v_mad_u32 v6, v6, s18, s23
	s_branch .LBB26_26
.LBB26_31:                              ;   in Loop: Header=BB26_22 Depth=1
	s_or_b32 exec_lo, exec_lo, s24
; %bb.32:                               ;   in Loop: Header=BB26_22 Depth=1
	s_sub_co_i32 s14, s14, s18
	s_cmp_lt_i32 s19, 2
	s_cbranch_scc1 .LBB26_34
; %bb.33:                               ;   in Loop: Header=BB26_22 Depth=1
	s_mov_b32 s19, s23
	v_mov_b64_e32 v[4:5], 1.0
	s_and_not1_b32 vcc_lo, exec_lo, s8
	s_add_co_i32 s23, s19, -1
	s_cbranch_vccnz .LBB26_22
	s_branch .LBB26_21
.LBB26_34:
	s_and_b32 s8, s10, exec_lo
.LBB26_35:
	s_or_b32 exec_lo, exec_lo, s1
	v_cmp_eq_u32_e32 vcc_lo, 0, v0
	global_wb scope:SCOPE_DEV
	s_wait_loadcnt 0x0
	s_wait_storecnt 0x0
	global_inv scope:SCOPE_DEV
	s_wait_loadcnt 0x0
	s_barrier_signal -1
	s_barrier_wait -1
	s_and_b32 s0, vcc_lo, s0
	s_delay_alu instid0(SALU_CYCLE_1)
	s_and_saveexec_b32 s1, s0
	s_cbranch_execz .LBB26_39
; %bb.36:
	s_add_co_i32 s0, s6, s15
	s_delay_alu instid0(SALU_CYCLE_1)
	v_dual_mov_b32 v0, 1 :: v_dual_mov_b32 v1, s0
	global_store_b32 v1, v0, s[4:5] scale_offset scope:SCOPE_DEV
	s_wait_xcnt 0x0
	s_and_b32 exec_lo, exec_lo, s8
	s_cbranch_execz .LBB26_39
; %bb.37:
	v_mbcnt_lo_u32_b32 v0, exec_lo, 0
	s_delay_alu instid0(VALU_DEP_1)
	v_cmp_eq_u32_e32 vcc_lo, 0, v0
	s_and_b32 exec_lo, exec_lo, vcc_lo
	s_cbranch_execz .LBB26_39
; %bb.38:
	s_add_co_i32 s0, s6, s12
	s_delay_alu instid0(SALU_CYCLE_1)
	v_dual_mov_b32 v0, 0 :: v_dual_mov_b32 v1, s0
	global_atomic_min_i32 v0, v1, s[2:3] scope:SCOPE_DEV
.LBB26_39:
	s_endpgm
	.section	.rodata,"a",@progbits
	.p2align	6, 0x0
	.amdhsa_kernel _ZN9rocsparseL24bsrsm_upper_large_kernelILj256ELj16ELb0EdEEviiPKiS2_PKT2_iPS3_iPiS2_S7_21rocsparse_index_base_20rocsparse_diag_type_20rocsparse_direction_
		.amdhsa_group_segment_fixed_size 0
		.amdhsa_private_segment_fixed_size 0
		.amdhsa_kernarg_size 92
		.amdhsa_user_sgpr_count 2
		.amdhsa_user_sgpr_dispatch_ptr 0
		.amdhsa_user_sgpr_queue_ptr 0
		.amdhsa_user_sgpr_kernarg_segment_ptr 1
		.amdhsa_user_sgpr_dispatch_id 0
		.amdhsa_user_sgpr_kernarg_preload_length 0
		.amdhsa_user_sgpr_kernarg_preload_offset 0
		.amdhsa_user_sgpr_private_segment_size 0
		.amdhsa_wavefront_size32 1
		.amdhsa_uses_dynamic_stack 0
		.amdhsa_enable_private_segment 0
		.amdhsa_system_sgpr_workgroup_id_x 1
		.amdhsa_system_sgpr_workgroup_id_y 0
		.amdhsa_system_sgpr_workgroup_id_z 0
		.amdhsa_system_sgpr_workgroup_info 0
		.amdhsa_system_vgpr_workitem_id 0
		.amdhsa_next_free_vgpr 18
		.amdhsa_next_free_sgpr 36
		.amdhsa_named_barrier_count 0
		.amdhsa_reserve_vcc 1
		.amdhsa_float_round_mode_32 0
		.amdhsa_float_round_mode_16_64 0
		.amdhsa_float_denorm_mode_32 3
		.amdhsa_float_denorm_mode_16_64 3
		.amdhsa_fp16_overflow 0
		.amdhsa_memory_ordered 1
		.amdhsa_forward_progress 1
		.amdhsa_inst_pref_size 13
		.amdhsa_round_robin_scheduling 0
		.amdhsa_exception_fp_ieee_invalid_op 0
		.amdhsa_exception_fp_denorm_src 0
		.amdhsa_exception_fp_ieee_div_zero 0
		.amdhsa_exception_fp_ieee_overflow 0
		.amdhsa_exception_fp_ieee_underflow 0
		.amdhsa_exception_fp_ieee_inexact 0
		.amdhsa_exception_int_div_zero 0
	.end_amdhsa_kernel
	.section	.text._ZN9rocsparseL24bsrsm_upper_large_kernelILj256ELj16ELb0EdEEviiPKiS2_PKT2_iPS3_iPiS2_S7_21rocsparse_index_base_20rocsparse_diag_type_20rocsparse_direction_,"axG",@progbits,_ZN9rocsparseL24bsrsm_upper_large_kernelILj256ELj16ELb0EdEEviiPKiS2_PKT2_iPS3_iPiS2_S7_21rocsparse_index_base_20rocsparse_diag_type_20rocsparse_direction_,comdat
.Lfunc_end26:
	.size	_ZN9rocsparseL24bsrsm_upper_large_kernelILj256ELj16ELb0EdEEviiPKiS2_PKT2_iPS3_iPiS2_S7_21rocsparse_index_base_20rocsparse_diag_type_20rocsparse_direction_, .Lfunc_end26-_ZN9rocsparseL24bsrsm_upper_large_kernelILj256ELj16ELb0EdEEviiPKiS2_PKT2_iPS3_iPiS2_S7_21rocsparse_index_base_20rocsparse_diag_type_20rocsparse_direction_
                                        ; -- End function
	.set _ZN9rocsparseL24bsrsm_upper_large_kernelILj256ELj16ELb0EdEEviiPKiS2_PKT2_iPS3_iPiS2_S7_21rocsparse_index_base_20rocsparse_diag_type_20rocsparse_direction_.num_vgpr, 18
	.set _ZN9rocsparseL24bsrsm_upper_large_kernelILj256ELj16ELb0EdEEviiPKiS2_PKT2_iPS3_iPiS2_S7_21rocsparse_index_base_20rocsparse_diag_type_20rocsparse_direction_.num_agpr, 0
	.set _ZN9rocsparseL24bsrsm_upper_large_kernelILj256ELj16ELb0EdEEviiPKiS2_PKT2_iPS3_iPiS2_S7_21rocsparse_index_base_20rocsparse_diag_type_20rocsparse_direction_.numbered_sgpr, 36
	.set _ZN9rocsparseL24bsrsm_upper_large_kernelILj256ELj16ELb0EdEEviiPKiS2_PKT2_iPS3_iPiS2_S7_21rocsparse_index_base_20rocsparse_diag_type_20rocsparse_direction_.num_named_barrier, 0
	.set _ZN9rocsparseL24bsrsm_upper_large_kernelILj256ELj16ELb0EdEEviiPKiS2_PKT2_iPS3_iPiS2_S7_21rocsparse_index_base_20rocsparse_diag_type_20rocsparse_direction_.private_seg_size, 0
	.set _ZN9rocsparseL24bsrsm_upper_large_kernelILj256ELj16ELb0EdEEviiPKiS2_PKT2_iPS3_iPiS2_S7_21rocsparse_index_base_20rocsparse_diag_type_20rocsparse_direction_.uses_vcc, 1
	.set _ZN9rocsparseL24bsrsm_upper_large_kernelILj256ELj16ELb0EdEEviiPKiS2_PKT2_iPS3_iPiS2_S7_21rocsparse_index_base_20rocsparse_diag_type_20rocsparse_direction_.uses_flat_scratch, 0
	.set _ZN9rocsparseL24bsrsm_upper_large_kernelILj256ELj16ELb0EdEEviiPKiS2_PKT2_iPS3_iPiS2_S7_21rocsparse_index_base_20rocsparse_diag_type_20rocsparse_direction_.has_dyn_sized_stack, 0
	.set _ZN9rocsparseL24bsrsm_upper_large_kernelILj256ELj16ELb0EdEEviiPKiS2_PKT2_iPS3_iPiS2_S7_21rocsparse_index_base_20rocsparse_diag_type_20rocsparse_direction_.has_recursion, 0
	.set _ZN9rocsparseL24bsrsm_upper_large_kernelILj256ELj16ELb0EdEEviiPKiS2_PKT2_iPS3_iPiS2_S7_21rocsparse_index_base_20rocsparse_diag_type_20rocsparse_direction_.has_indirect_call, 0
	.section	.AMDGPU.csdata,"",@progbits
; Kernel info:
; codeLenInByte = 1600
; TotalNumSgprs: 38
; NumVgprs: 18
; ScratchSize: 0
; MemoryBound: 0
; FloatMode: 240
; IeeeMode: 1
; LDSByteSize: 0 bytes/workgroup (compile time only)
; SGPRBlocks: 0
; VGPRBlocks: 1
; NumSGPRsForWavesPerEU: 38
; NumVGPRsForWavesPerEU: 18
; NamedBarCnt: 0
; Occupancy: 16
; WaveLimiterHint : 1
; COMPUTE_PGM_RSRC2:SCRATCH_EN: 0
; COMPUTE_PGM_RSRC2:USER_SGPR: 2
; COMPUTE_PGM_RSRC2:TRAP_HANDLER: 0
; COMPUTE_PGM_RSRC2:TGID_X_EN: 1
; COMPUTE_PGM_RSRC2:TGID_Y_EN: 0
; COMPUTE_PGM_RSRC2:TGID_Z_EN: 0
; COMPUTE_PGM_RSRC2:TIDIG_COMP_CNT: 0
	.section	.text._ZN9rocsparseL24bsrsm_lower_large_kernelILj256ELj16ELb0EdEEviiPKiS2_PKT2_iPS3_iPiS2_S7_21rocsparse_index_base_20rocsparse_diag_type_20rocsparse_direction_,"axG",@progbits,_ZN9rocsparseL24bsrsm_lower_large_kernelILj256ELj16ELb0EdEEviiPKiS2_PKT2_iPS3_iPiS2_S7_21rocsparse_index_base_20rocsparse_diag_type_20rocsparse_direction_,comdat
	.globl	_ZN9rocsparseL24bsrsm_lower_large_kernelILj256ELj16ELb0EdEEviiPKiS2_PKT2_iPS3_iPiS2_S7_21rocsparse_index_base_20rocsparse_diag_type_20rocsparse_direction_ ; -- Begin function _ZN9rocsparseL24bsrsm_lower_large_kernelILj256ELj16ELb0EdEEviiPKiS2_PKT2_iPS3_iPiS2_S7_21rocsparse_index_base_20rocsparse_diag_type_20rocsparse_direction_
	.p2align	8
	.type	_ZN9rocsparseL24bsrsm_lower_large_kernelILj256ELj16ELb0EdEEviiPKiS2_PKT2_iPS3_iPiS2_S7_21rocsparse_index_base_20rocsparse_diag_type_20rocsparse_direction_,@function
_ZN9rocsparseL24bsrsm_lower_large_kernelILj256ELj16ELb0EdEEviiPKiS2_PKT2_iPS3_iPiS2_S7_21rocsparse_index_base_20rocsparse_diag_type_20rocsparse_direction_: ; @_ZN9rocsparseL24bsrsm_lower_large_kernelILj256ELj16ELb0EdEEviiPKiS2_PKT2_iPS3_iPiS2_S7_21rocsparse_index_base_20rocsparse_diag_type_20rocsparse_direction_
; %bb.0:
	s_clause 0x1
	s_load_b64 s[24:25], s[0:1], 0x0
	s_load_b128 s[8:11], s[0:1], 0x8
	s_bfe_u32 s4, ttmp6, 0x4000c
	s_and_b32 s3, ttmp6, 15
	s_add_co_i32 s4, s4, 1
	s_getreg_b32 s5, hwreg(HW_REG_IB_STS2, 6, 4)
	s_mul_i32 s4, ttmp9, s4
	v_dual_lshrrev_b32 v4, 4, v0 :: v_dual_bitop2_b32 v5, 15, v0 bitop3:0x40
	s_add_co_i32 s3, s3, s4
	s_wait_kmcnt 0x0
	s_cvt_f32_u32 s2, s24
	s_sub_co_i32 s6, 0, s24
	s_delay_alu instid0(SALU_CYCLE_2) | instskip(SKIP_1) | instid1(TRANS32_DEP_1)
	v_rcp_iflag_f32_e32 v1, s2
	v_nop
	v_readfirstlane_b32 s2, v1
	s_mul_f32 s2, s2, 0x4f7ffffe
	s_delay_alu instid0(SALU_CYCLE_3) | instskip(NEXT) | instid1(SALU_CYCLE_3)
	s_cvt_u32_f32 s2, s2
	s_mul_i32 s6, s6, s2
	s_delay_alu instid0(SALU_CYCLE_1) | instskip(NEXT) | instid1(SALU_CYCLE_1)
	s_mul_hi_u32 s6, s2, s6
	s_add_co_i32 s2, s2, s6
	s_cmp_eq_u32 s5, 0
	s_load_b128 s[4:7], s[0:1], 0x38
	s_cselect_b32 s3, ttmp9, s3
	s_delay_alu instid0(SALU_CYCLE_1) | instskip(NEXT) | instid1(SALU_CYCLE_1)
	s_mul_hi_u32 s2, s3, s2
	s_mul_i32 s12, s2, s24
	s_add_co_i32 s13, s2, 1
	s_sub_co_i32 s12, s3, s12
	s_delay_alu instid0(SALU_CYCLE_1)
	s_sub_co_i32 s14, s12, s24
	s_cmp_ge_u32 s12, s24
	s_cselect_b32 s2, s13, s2
	s_cselect_b32 s12, s14, s12
	s_add_co_i32 s13, s2, 1
	s_cmp_ge_u32 s12, s24
	s_cselect_b32 s19, s13, s2
	s_delay_alu instid0(SALU_CYCLE_1) | instskip(SKIP_4) | instid1(SALU_CYCLE_1)
	s_mul_i32 s15, s19, s24
	s_lshl_b32 s19, s19, 4
	s_sub_co_i32 s2, s3, s15
	v_or_b32_e32 v1, s19, v4
	s_ashr_i32 s3, s2, 31
	s_lshl_b64 s[12:13], s[2:3], 2
	s_load_b64 s[2:3], s[0:1], 0x48
	s_wait_kmcnt 0x0
	s_add_nc_u64 s[6:7], s[6:7], s[12:13]
	v_cmp_gt_i32_e32 vcc_lo, s25, v1
	s_load_b32 s6, s[6:7], 0x0
	s_wait_kmcnt 0x0
	s_ashr_i32 s7, s6, 31
	s_delay_alu instid0(SALU_CYCLE_1) | instskip(NEXT) | instid1(SALU_CYCLE_1)
	s_lshl_b64 s[12:13], s[6:7], 2
	s_add_nc_u64 s[26:27], s[8:9], s[12:13]
	s_load_b96 s[12:14], s[0:1], 0x50
	s_load_b64 s[8:9], s[26:27], 0x0
	s_clause 0x1
	s_load_b96 s[16:18], s[0:1], 0x18
	s_load_b96 s[20:22], s[0:1], 0x28
	s_wait_xcnt 0x0
	v_cmp_eq_u32_e64 s0, 0, v0
	s_wait_kmcnt 0x0
	s_sub_co_i32 s23, s8, s12
	s_cmp_ge_i32 s8, s9
	s_mul_i32 s7, s6, s18
	s_mul_i32 s26, s18, s18
	s_cbranch_scc1 .LBB27_18
; %bb.1:
	v_mad_u32 v2, s18, s23, v5
	v_cmp_gt_i32_e64 s1, s18, v5
	s_sub_co_i32 s27, s9, s12
	v_mov_b32_e32 v7, 0
	s_cmp_lg_u32 s14, 0
	s_mul_i32 s30, s22, s18
	s_cselect_b32 s28, -1, 0
	s_and_b32 s29, vcc_lo, s1
	s_lshl_b32 s31, s18, 4
	v_mul_lo_u32 v6, s18, v2
	s_branch .LBB27_3
.LBB27_2:                               ;   in Loop: Header=BB27_3 Depth=1
                                        ; implicit-def: $vgpr6
	s_and_b32 vcc_lo, exec_lo, s8
	s_cbranch_vccnz .LBB27_19
.LBB27_3:                               ; =>This Loop Header: Depth=1
                                        ;     Child Loop BB27_7 Depth 2
                                        ;     Child Loop BB27_11 Depth 2
                                        ;       Child Loop BB27_13 Depth 3
	s_wait_xcnt 0x0
	v_mov_b32_e32 v2, s23
	s_mov_b32 s8, -1
	global_load_b32 v2, v2, s[10:11] scale_offset
	s_wait_loadcnt 0x0
	v_readfirstlane_b32 s1, v2
	s_sub_co_i32 s1, s1, s12
	s_delay_alu instid0(SALU_CYCLE_1)
	s_cmp_ge_i32 s1, s6
	s_cbranch_scc1 .LBB27_2
; %bb.4:                                ;   in Loop: Header=BB27_3 Depth=1
	s_wait_xcnt 0x0
	s_and_saveexec_b32 s33, s0
	s_cbranch_execz .LBB27_8
; %bb.5:                                ;   in Loop: Header=BB27_3 Depth=1
	s_add_co_i32 s8, s1, s15
	s_delay_alu instid0(SALU_CYCLE_1)
	v_mov_b32_e32 v2, s8
	global_load_b32 v2, v2, s[4:5] scale_offset scope:SCOPE_DEV
	s_wait_loadcnt 0x0
	v_cmp_ne_u32_e32 vcc_lo, 0, v2
	s_cbranch_vccnz .LBB27_8
; %bb.6:                                ;   in Loop: Header=BB27_3 Depth=1
	s_ashr_i32 s9, s8, 31
	s_delay_alu instid0(SALU_CYCLE_1) | instskip(NEXT) | instid1(SALU_CYCLE_1)
	s_lshl_b64 s[8:9], s[8:9], 2
	s_add_nc_u64 s[8:9], s[4:5], s[8:9]
.LBB27_7:                               ;   Parent Loop BB27_3 Depth=1
                                        ; =>  This Inner Loop Header: Depth=2
	global_load_b32 v2, v7, s[8:9] scope:SCOPE_DEV
	s_wait_loadcnt 0x0
	v_cmp_eq_u32_e32 vcc_lo, 0, v2
	s_cbranch_vccnz .LBB27_7
.LBB27_8:                               ;   in Loop: Header=BB27_3 Depth=1
	s_wait_xcnt 0x0
	s_or_b32 exec_lo, exec_lo, s33
	global_wb scope:SCOPE_DEV
	s_wait_storecnt 0x0
	global_inv scope:SCOPE_DEV
	s_wait_loadcnt 0x0
	s_barrier_signal -1
	s_barrier_wait -1
	s_and_saveexec_b32 s8, s29
	s_cbranch_execz .LBB27_17
; %bb.9:                                ;   in Loop: Header=BB27_3 Depth=1
	v_mad_u32 v8, s30, s1, v1
	v_dual_mov_b32 v9, v6 :: v_dual_mov_b32 v10, v5
	s_mul_i32 s9, s23, s18
	s_mov_b32 s33, 0
	s_branch .LBB27_11
.LBB27_10:                              ;   in Loop: Header=BB27_11 Depth=2
	v_dual_add_nc_u32 v11, s7, v10 :: v_dual_add_nc_u32 v10, 16, v10
	v_add_nc_u32_e32 v9, s31, v9
	s_delay_alu instid0(VALU_DEP_2) | instskip(NEXT) | instid1(VALU_DEP_3)
	v_mad_u32 v11, v11, s22, v1
	v_cmp_le_i32_e32 vcc_lo, s18, v10
	s_or_b32 s33, vcc_lo, s33
	global_load_b64 v[12:13], v11, s[20:21] scale_offset
	s_wait_loadcnt 0x0
	v_add_f64_e64 v[2:3], v[12:13], -v[2:3]
	global_store_b64 v11, v[2:3], s[20:21] scale_offset
	s_wait_xcnt 0x0
	s_and_not1_b32 exec_lo, exec_lo, s33
	s_cbranch_execz .LBB27_17
.LBB27_11:                              ;   Parent Loop BB27_3 Depth=1
                                        ; =>  This Loop Header: Depth=2
                                        ;       Child Loop BB27_13 Depth 3
	v_mov_b64_e32 v[2:3], 0
	s_delay_alu instid0(VALU_DEP_3)
	v_mov_b32_e32 v11, v8
	s_mov_b32 s34, 0
	s_branch .LBB27_13
.LBB27_12:                              ;   in Loop: Header=BB27_13 Depth=3
	global_load_b64 v[14:15], v12, s[16:17] scale_offset
	global_load_b64 v[16:17], v11, s[20:21] scale_offset
	s_wait_xcnt 0x0
	v_add_nc_u32_e32 v11, s22, v11
	s_add_co_i32 s34, s34, 1
	s_delay_alu instid0(SALU_CYCLE_1)
	s_cmp_eq_u32 s18, s34
	s_wait_loadcnt 0x0
	v_fmac_f64_e32 v[2:3], v[14:15], v[16:17]
	s_cbranch_scc1 .LBB27_10
.LBB27_13:                              ;   Parent Loop BB27_3 Depth=1
                                        ;     Parent Loop BB27_11 Depth=2
                                        ; =>    This Inner Loop Header: Depth=3
	s_and_b32 vcc_lo, exec_lo, s28
	s_cbranch_vccz .LBB27_15
; %bb.14:                               ;   in Loop: Header=BB27_13 Depth=3
	s_add_co_i32 s35, s34, s9
	s_delay_alu instid0(SALU_CYCLE_1)
	v_mad_u32 v12, s35, s18, v10
	s_cbranch_execnz .LBB27_12
	s_branch .LBB27_16
.LBB27_15:                              ;   in Loop: Header=BB27_13 Depth=3
                                        ; implicit-def: $vgpr12
.LBB27_16:                              ;   in Loop: Header=BB27_13 Depth=3
	v_add_nc_u32_e32 v12, s34, v9
	s_branch .LBB27_12
.LBB27_17:                              ;   in Loop: Header=BB27_3 Depth=1
	s_or_b32 exec_lo, exec_lo, s8
	s_add_co_i32 s23, s23, 1
	v_add_nc_u32_e32 v6, s26, v6
	s_cmp_ge_i32 s23, s27
	s_cselect_b32 s8, -1, 0
	s_delay_alu instid0(SALU_CYCLE_1)
	s_and_b32 vcc_lo, exec_lo, s8
	s_cbranch_vccz .LBB27_3
	s_branch .LBB27_19
.LBB27_18:
	s_mov_b32 s1, s24
.LBB27_19:
	s_cmp_lt_i32 s6, s24
	v_cmp_gt_i32_e32 vcc_lo, s25, v1
	s_cselect_b32 s0, -1, 0
	s_cmp_eq_u32 s6, s1
	s_cselect_b32 s1, -1, 0
	s_delay_alu instid0(SALU_CYCLE_1) | instskip(SKIP_2) | instid1(SALU_CYCLE_1)
	s_and_b32 s1, vcc_lo, s1
	s_cmp_gt_i32 s18, 0
	s_cselect_b32 s8, -1, 0
	s_and_b32 s1, s1, s8
	s_mov_b32 s8, 0
	s_and_b32 s9, s1, s0
	s_wait_xcnt 0x0
	s_and_saveexec_b32 s1, s9
	s_cbranch_execz .LBB27_34
; %bb.20:
	v_dual_add_nc_u32 v2, s7, v5 :: v_dual_add_nc_u32 v8, 1, v5
	s_cmp_eq_u32 s13, 0
	s_mul_i32 s10, s23, s18
	s_cselect_b32 s9, -1, 0
	s_delay_alu instid0(VALU_DEP_1)
	v_mad_u32 v2, s22, v2, s22
	s_cmp_lg_u32 s14, 0
	s_mul_i32 s14, s23, s26
	s_cselect_b32 s11, -1, 0
	s_lshl_b32 s13, s22, 4
	s_mov_b32 s23, 0
	s_delay_alu instid0(VALU_DEP_1)
	v_add3_u32 v9, v4, v2, s19
	s_add_co_i32 s19, s18, 1
	s_branch .LBB27_22
.LBB27_21:                              ;   in Loop: Header=BB27_22 Depth=1
	s_or_b32 exec_lo, exec_lo, s24
	v_add_nc_u32_e32 v9, s22, v9
	s_add_co_i32 s8, s8, 1
	s_add_co_i32 s14, s14, s19
	s_cmp_eq_u32 s8, s18
	s_cbranch_scc1 .LBB27_33
.LBB27_22:                              ; =>This Loop Header: Depth=1
                                        ;     Child Loop BB27_29 Depth 2
	v_mov_b64_e32 v[4:5], 1.0
	s_and_not1_b32 vcc_lo, exec_lo, s9
	s_cbranch_vccnz .LBB27_24
; %bb.23:                               ;   in Loop: Header=BB27_22 Depth=1
	s_add_co_i32 s24, s8, s10
	s_delay_alu instid0(SALU_CYCLE_1) | instskip(NEXT) | instid1(SALU_CYCLE_1)
	s_mul_i32 s24, s24, s18
	s_add_co_i32 s24, s24, s8
	s_wait_loadcnt 0x0
	v_mov_b32_e32 v2, s24
	global_load_b64 v[4:5], v2, s[16:17] scale_offset
.LBB27_24:                              ;   in Loop: Header=BB27_22 Depth=1
	s_add_co_i32 s24, s8, s7
	s_wait_loadcnt 0x0
	s_delay_alu instid0(VALU_DEP_1)
	v_cmp_eq_f64_e32 vcc_lo, 0, v[4:5]
	v_mad_u32 v6, s24, s22, v1
	global_load_b64 v[2:3], v6, s[20:21] scale_offset
	s_cbranch_vccnz .LBB27_26
; %bb.25:                               ;   in Loop: Header=BB27_22 Depth=1
	s_wait_loadcnt 0x0
	v_div_scale_f64 v[10:11], null, v[4:5], v[4:5], v[2:3]
	v_ashrrev_i32_e32 v7, 31, v6
	s_delay_alu instid0(VALU_DEP_2) | instskip(SKIP_1) | instid1(TRANS32_DEP_1)
	v_rcp_f64_e32 v[12:13], v[10:11]
	v_nop
	v_fma_f64 v[14:15], -v[10:11], v[12:13], 1.0
	s_delay_alu instid0(VALU_DEP_1) | instskip(NEXT) | instid1(VALU_DEP_1)
	v_fmac_f64_e32 v[12:13], v[12:13], v[14:15]
	v_fma_f64 v[14:15], -v[10:11], v[12:13], 1.0
	s_delay_alu instid0(VALU_DEP_1) | instskip(SKIP_1) | instid1(VALU_DEP_1)
	v_fmac_f64_e32 v[12:13], v[12:13], v[14:15]
	v_div_scale_f64 v[14:15], vcc_lo, v[2:3], v[4:5], v[2:3]
	v_mul_f64_e32 v[16:17], v[14:15], v[12:13]
	s_delay_alu instid0(VALU_DEP_1) | instskip(NEXT) | instid1(VALU_DEP_1)
	v_fma_f64 v[10:11], -v[10:11], v[16:17], v[14:15]
	v_div_fmas_f64 v[10:11], v[10:11], v[12:13], v[16:17]
	s_delay_alu instid0(VALU_DEP_1)
	v_div_fixup_f64 v[2:3], v[10:11], v[4:5], v[2:3]
	v_lshl_add_u64 v[4:5], v[6:7], 3, s[20:21]
	global_store_b64 v[4:5], v[2:3], off
	s_wait_xcnt 0x0
	v_add_nc_u32_e32 v4, s8, v8
	s_mov_b32 s24, exec_lo
	s_delay_alu instid0(VALU_DEP_1)
	v_cmpx_gt_i32_e64 s18, v4
	s_cbranch_execz .LBB27_21
	s_branch .LBB27_27
.LBB27_26:                              ;   in Loop: Header=BB27_22 Depth=1
	s_mov_b32 s23, -1
	v_add_nc_u32_e32 v4, s8, v8
	s_mov_b32 s24, exec_lo
	s_wait_xcnt 0x0
	s_delay_alu instid0(VALU_DEP_1)
	v_cmpx_gt_i32_e64 s18, v4
	s_cbranch_execz .LBB27_21
.LBB27_27:                              ;   in Loop: Header=BB27_22 Depth=1
	v_dual_mov_b32 v5, v9 :: v_dual_mov_b32 v6, v8
	s_mov_b32 s25, 0
	s_branch .LBB27_29
.LBB27_28:                              ;   in Loop: Header=BB27_29 Depth=2
	global_load_b64 v[10:11], v7, s[16:17] scale_offset
	global_load_b64 v[12:13], v5, s[20:21] scale_offset
	v_dual_add_nc_u32 v6, 16, v6 :: v_dual_add_nc_u32 v4, 16, v4
	s_wait_loadcnt 0x0
	v_fma_f64 v[10:11], -v[2:3], v[10:11], v[12:13]
	global_store_b64 v5, v[10:11], s[20:21] scale_offset
	s_wait_xcnt 0x0
	v_dual_add_nc_u32 v5, s13, v5 :: v_dual_add_nc_u32 v7, s8, v6
	s_delay_alu instid0(VALU_DEP_1) | instskip(SKIP_1) | instid1(SALU_CYCLE_1)
	v_cmp_le_i32_e32 vcc_lo, s18, v7
	s_or_b32 s25, vcc_lo, s25
	s_and_not1_b32 exec_lo, exec_lo, s25
	s_cbranch_execz .LBB27_21
.LBB27_29:                              ;   Parent Loop BB27_22 Depth=1
                                        ; =>  This Inner Loop Header: Depth=2
	s_and_b32 vcc_lo, exec_lo, s11
	s_cbranch_vccz .LBB27_31
; %bb.30:                               ;   in Loop: Header=BB27_29 Depth=2
	v_add_nc_u32_e32 v7, s14, v6
	s_cbranch_execnz .LBB27_28
	s_branch .LBB27_32
.LBB27_31:                              ;   in Loop: Header=BB27_29 Depth=2
                                        ; implicit-def: $vgpr7
.LBB27_32:                              ;   in Loop: Header=BB27_29 Depth=2
	v_add_nc_u32_e32 v7, s10, v4
	s_delay_alu instid0(VALU_DEP_1)
	v_mad_u32 v7, v7, s18, s8
	s_branch .LBB27_28
.LBB27_33:
	s_and_b32 s8, s23, exec_lo
.LBB27_34:
	s_or_b32 exec_lo, exec_lo, s1
	v_cmp_eq_u32_e32 vcc_lo, 0, v0
	global_wb scope:SCOPE_DEV
	s_wait_loadcnt 0x0
	s_wait_storecnt 0x0
	global_inv scope:SCOPE_DEV
	s_wait_loadcnt 0x0
	s_barrier_signal -1
	s_barrier_wait -1
	s_and_b32 s0, vcc_lo, s0
	s_delay_alu instid0(SALU_CYCLE_1)
	s_and_saveexec_b32 s1, s0
	s_cbranch_execz .LBB27_38
; %bb.35:
	s_add_co_i32 s0, s6, s15
	s_delay_alu instid0(SALU_CYCLE_1)
	v_dual_mov_b32 v0, 1 :: v_dual_mov_b32 v1, s0
	global_store_b32 v1, v0, s[4:5] scale_offset scope:SCOPE_DEV
	s_wait_xcnt 0x0
	s_and_b32 exec_lo, exec_lo, s8
	s_cbranch_execz .LBB27_38
; %bb.36:
	v_mbcnt_lo_u32_b32 v0, exec_lo, 0
	s_delay_alu instid0(VALU_DEP_1)
	v_cmp_eq_u32_e32 vcc_lo, 0, v0
	s_and_b32 exec_lo, exec_lo, vcc_lo
	s_cbranch_execz .LBB27_38
; %bb.37:
	s_add_co_i32 s0, s6, s12
	s_delay_alu instid0(SALU_CYCLE_1)
	v_dual_mov_b32 v0, 0 :: v_dual_mov_b32 v1, s0
	global_atomic_min_i32 v0, v1, s[2:3] scope:SCOPE_DEV
.LBB27_38:
	s_endpgm
	.section	.rodata,"a",@progbits
	.p2align	6, 0x0
	.amdhsa_kernel _ZN9rocsparseL24bsrsm_lower_large_kernelILj256ELj16ELb0EdEEviiPKiS2_PKT2_iPS3_iPiS2_S7_21rocsparse_index_base_20rocsparse_diag_type_20rocsparse_direction_
		.amdhsa_group_segment_fixed_size 0
		.amdhsa_private_segment_fixed_size 0
		.amdhsa_kernarg_size 92
		.amdhsa_user_sgpr_count 2
		.amdhsa_user_sgpr_dispatch_ptr 0
		.amdhsa_user_sgpr_queue_ptr 0
		.amdhsa_user_sgpr_kernarg_segment_ptr 1
		.amdhsa_user_sgpr_dispatch_id 0
		.amdhsa_user_sgpr_kernarg_preload_length 0
		.amdhsa_user_sgpr_kernarg_preload_offset 0
		.amdhsa_user_sgpr_private_segment_size 0
		.amdhsa_wavefront_size32 1
		.amdhsa_uses_dynamic_stack 0
		.amdhsa_enable_private_segment 0
		.amdhsa_system_sgpr_workgroup_id_x 1
		.amdhsa_system_sgpr_workgroup_id_y 0
		.amdhsa_system_sgpr_workgroup_id_z 0
		.amdhsa_system_sgpr_workgroup_info 0
		.amdhsa_system_vgpr_workitem_id 0
		.amdhsa_next_free_vgpr 18
		.amdhsa_next_free_sgpr 36
		.amdhsa_named_barrier_count 0
		.amdhsa_reserve_vcc 1
		.amdhsa_float_round_mode_32 0
		.amdhsa_float_round_mode_16_64 0
		.amdhsa_float_denorm_mode_32 3
		.amdhsa_float_denorm_mode_16_64 3
		.amdhsa_fp16_overflow 0
		.amdhsa_memory_ordered 1
		.amdhsa_forward_progress 1
		.amdhsa_inst_pref_size 13
		.amdhsa_round_robin_scheduling 0
		.amdhsa_exception_fp_ieee_invalid_op 0
		.amdhsa_exception_fp_denorm_src 0
		.amdhsa_exception_fp_ieee_div_zero 0
		.amdhsa_exception_fp_ieee_overflow 0
		.amdhsa_exception_fp_ieee_underflow 0
		.amdhsa_exception_fp_ieee_inexact 0
		.amdhsa_exception_int_div_zero 0
	.end_amdhsa_kernel
	.section	.text._ZN9rocsparseL24bsrsm_lower_large_kernelILj256ELj16ELb0EdEEviiPKiS2_PKT2_iPS3_iPiS2_S7_21rocsparse_index_base_20rocsparse_diag_type_20rocsparse_direction_,"axG",@progbits,_ZN9rocsparseL24bsrsm_lower_large_kernelILj256ELj16ELb0EdEEviiPKiS2_PKT2_iPS3_iPiS2_S7_21rocsparse_index_base_20rocsparse_diag_type_20rocsparse_direction_,comdat
.Lfunc_end27:
	.size	_ZN9rocsparseL24bsrsm_lower_large_kernelILj256ELj16ELb0EdEEviiPKiS2_PKT2_iPS3_iPiS2_S7_21rocsparse_index_base_20rocsparse_diag_type_20rocsparse_direction_, .Lfunc_end27-_ZN9rocsparseL24bsrsm_lower_large_kernelILj256ELj16ELb0EdEEviiPKiS2_PKT2_iPS3_iPiS2_S7_21rocsparse_index_base_20rocsparse_diag_type_20rocsparse_direction_
                                        ; -- End function
	.set _ZN9rocsparseL24bsrsm_lower_large_kernelILj256ELj16ELb0EdEEviiPKiS2_PKT2_iPS3_iPiS2_S7_21rocsparse_index_base_20rocsparse_diag_type_20rocsparse_direction_.num_vgpr, 18
	.set _ZN9rocsparseL24bsrsm_lower_large_kernelILj256ELj16ELb0EdEEviiPKiS2_PKT2_iPS3_iPiS2_S7_21rocsparse_index_base_20rocsparse_diag_type_20rocsparse_direction_.num_agpr, 0
	.set _ZN9rocsparseL24bsrsm_lower_large_kernelILj256ELj16ELb0EdEEviiPKiS2_PKT2_iPS3_iPiS2_S7_21rocsparse_index_base_20rocsparse_diag_type_20rocsparse_direction_.numbered_sgpr, 36
	.set _ZN9rocsparseL24bsrsm_lower_large_kernelILj256ELj16ELb0EdEEviiPKiS2_PKT2_iPS3_iPiS2_S7_21rocsparse_index_base_20rocsparse_diag_type_20rocsparse_direction_.num_named_barrier, 0
	.set _ZN9rocsparseL24bsrsm_lower_large_kernelILj256ELj16ELb0EdEEviiPKiS2_PKT2_iPS3_iPiS2_S7_21rocsparse_index_base_20rocsparse_diag_type_20rocsparse_direction_.private_seg_size, 0
	.set _ZN9rocsparseL24bsrsm_lower_large_kernelILj256ELj16ELb0EdEEviiPKiS2_PKT2_iPS3_iPiS2_S7_21rocsparse_index_base_20rocsparse_diag_type_20rocsparse_direction_.uses_vcc, 1
	.set _ZN9rocsparseL24bsrsm_lower_large_kernelILj256ELj16ELb0EdEEviiPKiS2_PKT2_iPS3_iPiS2_S7_21rocsparse_index_base_20rocsparse_diag_type_20rocsparse_direction_.uses_flat_scratch, 0
	.set _ZN9rocsparseL24bsrsm_lower_large_kernelILj256ELj16ELb0EdEEviiPKiS2_PKT2_iPS3_iPiS2_S7_21rocsparse_index_base_20rocsparse_diag_type_20rocsparse_direction_.has_dyn_sized_stack, 0
	.set _ZN9rocsparseL24bsrsm_lower_large_kernelILj256ELj16ELb0EdEEviiPKiS2_PKT2_iPS3_iPiS2_S7_21rocsparse_index_base_20rocsparse_diag_type_20rocsparse_direction_.has_recursion, 0
	.set _ZN9rocsparseL24bsrsm_lower_large_kernelILj256ELj16ELb0EdEEviiPKiS2_PKT2_iPS3_iPiS2_S7_21rocsparse_index_base_20rocsparse_diag_type_20rocsparse_direction_.has_indirect_call, 0
	.section	.AMDGPU.csdata,"",@progbits
; Kernel info:
; codeLenInByte = 1616
; TotalNumSgprs: 38
; NumVgprs: 18
; ScratchSize: 0
; MemoryBound: 0
; FloatMode: 240
; IeeeMode: 1
; LDSByteSize: 0 bytes/workgroup (compile time only)
; SGPRBlocks: 0
; VGPRBlocks: 1
; NumSGPRsForWavesPerEU: 38
; NumVGPRsForWavesPerEU: 18
; NamedBarCnt: 0
; Occupancy: 16
; WaveLimiterHint : 1
; COMPUTE_PGM_RSRC2:SCRATCH_EN: 0
; COMPUTE_PGM_RSRC2:USER_SGPR: 2
; COMPUTE_PGM_RSRC2:TRAP_HANDLER: 0
; COMPUTE_PGM_RSRC2:TGID_X_EN: 1
; COMPUTE_PGM_RSRC2:TGID_Y_EN: 0
; COMPUTE_PGM_RSRC2:TGID_Z_EN: 0
; COMPUTE_PGM_RSRC2:TIDIG_COMP_CNT: 0
	.section	.text._ZN9rocsparseL24bsrsm_upper_large_kernelILj512ELj16ELb0EdEEviiPKiS2_PKT2_iPS3_iPiS2_S7_21rocsparse_index_base_20rocsparse_diag_type_20rocsparse_direction_,"axG",@progbits,_ZN9rocsparseL24bsrsm_upper_large_kernelILj512ELj16ELb0EdEEviiPKiS2_PKT2_iPS3_iPiS2_S7_21rocsparse_index_base_20rocsparse_diag_type_20rocsparse_direction_,comdat
	.globl	_ZN9rocsparseL24bsrsm_upper_large_kernelILj512ELj16ELb0EdEEviiPKiS2_PKT2_iPS3_iPiS2_S7_21rocsparse_index_base_20rocsparse_diag_type_20rocsparse_direction_ ; -- Begin function _ZN9rocsparseL24bsrsm_upper_large_kernelILj512ELj16ELb0EdEEviiPKiS2_PKT2_iPS3_iPiS2_S7_21rocsparse_index_base_20rocsparse_diag_type_20rocsparse_direction_
	.p2align	8
	.type	_ZN9rocsparseL24bsrsm_upper_large_kernelILj512ELj16ELb0EdEEviiPKiS2_PKT2_iPS3_iPiS2_S7_21rocsparse_index_base_20rocsparse_diag_type_20rocsparse_direction_,@function
_ZN9rocsparseL24bsrsm_upper_large_kernelILj512ELj16ELb0EdEEviiPKiS2_PKT2_iPS3_iPiS2_S7_21rocsparse_index_base_20rocsparse_diag_type_20rocsparse_direction_: ; @_ZN9rocsparseL24bsrsm_upper_large_kernelILj512ELj16ELb0EdEEviiPKiS2_PKT2_iPS3_iPiS2_S7_21rocsparse_index_base_20rocsparse_diag_type_20rocsparse_direction_
; %bb.0:
	s_clause 0x1
	s_load_b64 s[24:25], s[0:1], 0x0
	s_load_b128 s[8:11], s[0:1], 0x8
	s_bfe_u32 s4, ttmp6, 0x4000c
	s_and_b32 s3, ttmp6, 15
	s_add_co_i32 s4, s4, 1
	s_getreg_b32 s5, hwreg(HW_REG_IB_STS2, 6, 4)
	s_mul_i32 s4, ttmp9, s4
	v_dual_lshrrev_b32 v4, 5, v0 :: v_dual_bitop2_b32 v8, 31, v0 bitop3:0x40
	s_add_co_i32 s3, s3, s4
	s_wait_kmcnt 0x0
	s_cvt_f32_u32 s2, s24
	s_sub_co_i32 s6, 0, s24
	s_delay_alu instid0(SALU_CYCLE_2) | instskip(SKIP_1) | instid1(TRANS32_DEP_1)
	v_rcp_iflag_f32_e32 v1, s2
	v_nop
	v_readfirstlane_b32 s2, v1
	s_mul_f32 s2, s2, 0x4f7ffffe
	s_delay_alu instid0(SALU_CYCLE_3) | instskip(NEXT) | instid1(SALU_CYCLE_3)
	s_cvt_u32_f32 s2, s2
	s_mul_i32 s6, s6, s2
	s_delay_alu instid0(SALU_CYCLE_1) | instskip(NEXT) | instid1(SALU_CYCLE_1)
	s_mul_hi_u32 s6, s2, s6
	s_add_co_i32 s2, s2, s6
	s_cmp_eq_u32 s5, 0
	s_load_b128 s[4:7], s[0:1], 0x38
	s_cselect_b32 s3, ttmp9, s3
	s_delay_alu instid0(SALU_CYCLE_1) | instskip(NEXT) | instid1(SALU_CYCLE_1)
	s_mul_hi_u32 s2, s3, s2
	s_mul_i32 s12, s2, s24
	s_add_co_i32 s13, s2, 1
	s_sub_co_i32 s12, s3, s12
	s_delay_alu instid0(SALU_CYCLE_1)
	s_sub_co_i32 s14, s12, s24
	s_cmp_ge_u32 s12, s24
	s_cselect_b32 s2, s13, s2
	s_cselect_b32 s12, s14, s12
	s_add_co_i32 s13, s2, 1
	s_cmp_ge_u32 s12, s24
	s_cselect_b32 s19, s13, s2
	s_delay_alu instid0(SALU_CYCLE_1) | instskip(SKIP_4) | instid1(SALU_CYCLE_1)
	s_mul_i32 s15, s19, s24
	s_lshl_b32 s19, s19, 4
	s_sub_co_i32 s2, s3, s15
	v_or_b32_e32 v1, s19, v4
	s_ashr_i32 s3, s2, 31
	s_lshl_b64 s[12:13], s[2:3], 2
	s_load_b64 s[2:3], s[0:1], 0x48
	s_wait_kmcnt 0x0
	s_add_nc_u64 s[6:7], s[6:7], s[12:13]
	s_load_b96 s[12:14], s[0:1], 0x50
	v_cmp_gt_i32_e32 vcc_lo, s25, v1
	s_load_b32 s6, s[6:7], 0x0
	s_wait_kmcnt 0x0
	s_ashr_i32 s7, s6, 31
	s_delay_alu instid0(SALU_CYCLE_1) | instskip(NEXT) | instid1(SALU_CYCLE_1)
	s_lshl_b64 s[16:17], s[6:7], 2
	s_add_nc_u64 s[8:9], s[8:9], s[16:17]
	s_load_b64 s[26:27], s[8:9], 0x0
	s_clause 0x1
	s_load_b96 s[16:18], s[0:1], 0x18
	s_load_b96 s[20:22], s[0:1], 0x28
	s_wait_xcnt 0x0
	s_not_b32 s0, s12
	s_wait_kmcnt 0x0
	s_add_co_i32 s23, s27, s0
	v_cmp_eq_u32_e64 s0, 0, v0
	s_sub_co_i32 s26, s26, s12
	s_mul_i32 s7, s6, s18
	s_cmp_lt_i32 s23, s26
	s_cbranch_scc1 .LBB28_18
; %bb.1:
	v_mad_u32 v2, s18, s23, v8
	v_cmp_gt_i32_e64 s1, s18, v8
	v_mov_b32_e32 v6, 0
	s_cmp_lg_u32 s14, 0
	s_mul_i32 s29, s22, s18
	s_cselect_b32 s27, -1, 0
	s_and_b32 s1, vcc_lo, s1
	s_mul_i32 s30, s18, s18
	s_lshl_b32 s31, s18, 5
	v_mul_lo_u32 v5, s18, v2
	s_branch .LBB28_3
.LBB28_2:                               ;   in Loop: Header=BB28_3 Depth=1
                                        ; implicit-def: $vgpr5
	s_cbranch_execnz .LBB28_19
.LBB28_3:                               ; =>This Loop Header: Depth=1
                                        ;     Child Loop BB28_7 Depth 2
                                        ;     Child Loop BB28_11 Depth 2
                                        ;       Child Loop BB28_13 Depth 3
	s_wait_xcnt 0x0
	v_mov_b32_e32 v2, s23
	global_load_b32 v2, v2, s[10:11] scale_offset
	s_wait_loadcnt 0x0
	v_readfirstlane_b32 s8, v2
	s_sub_co_i32 s28, s8, s12
	s_delay_alu instid0(SALU_CYCLE_1)
	s_cmp_le_i32 s28, s6
	s_cbranch_scc1 .LBB28_2
; %bb.4:                                ;   in Loop: Header=BB28_3 Depth=1
	s_wait_xcnt 0x0
	s_and_saveexec_b32 s33, s0
	s_cbranch_execz .LBB28_8
; %bb.5:                                ;   in Loop: Header=BB28_3 Depth=1
	s_add_co_i32 s8, s28, s15
	s_delay_alu instid0(SALU_CYCLE_1)
	v_mov_b32_e32 v2, s8
	global_load_b32 v2, v2, s[4:5] scale_offset scope:SCOPE_DEV
	s_wait_loadcnt 0x0
	v_cmp_ne_u32_e32 vcc_lo, 0, v2
	s_cbranch_vccnz .LBB28_8
; %bb.6:                                ;   in Loop: Header=BB28_3 Depth=1
	s_ashr_i32 s9, s8, 31
	s_delay_alu instid0(SALU_CYCLE_1) | instskip(NEXT) | instid1(SALU_CYCLE_1)
	s_lshl_b64 s[8:9], s[8:9], 2
	s_add_nc_u64 s[8:9], s[4:5], s[8:9]
.LBB28_7:                               ;   Parent Loop BB28_3 Depth=1
                                        ; =>  This Inner Loop Header: Depth=2
	global_load_b32 v2, v6, s[8:9] scope:SCOPE_DEV
	s_wait_loadcnt 0x0
	v_cmp_eq_u32_e32 vcc_lo, 0, v2
	s_cbranch_vccnz .LBB28_7
.LBB28_8:                               ;   in Loop: Header=BB28_3 Depth=1
	s_wait_xcnt 0x0
	s_or_b32 exec_lo, exec_lo, s33
	global_wb scope:SCOPE_DEV
	s_wait_storecnt 0x0
	global_inv scope:SCOPE_DEV
	s_wait_loadcnt 0x0
	s_barrier_signal -1
	s_barrier_wait -1
	s_and_saveexec_b32 s8, s1
	s_cbranch_execz .LBB28_17
; %bb.9:                                ;   in Loop: Header=BB28_3 Depth=1
	v_mad_u32 v7, s29, s28, v1
	v_dual_mov_b32 v9, v5 :: v_dual_mov_b32 v10, v8
	s_mul_i32 s9, s23, s18
	s_mov_b32 s33, 0
	s_branch .LBB28_11
.LBB28_10:                              ;   in Loop: Header=BB28_11 Depth=2
	v_dual_add_nc_u32 v11, s7, v10 :: v_dual_add_nc_u32 v10, 32, v10
	v_add_nc_u32_e32 v9, s31, v9
	s_delay_alu instid0(VALU_DEP_2) | instskip(NEXT) | instid1(VALU_DEP_3)
	v_mad_u32 v11, v11, s22, v1
	v_cmp_le_i32_e32 vcc_lo, s18, v10
	s_or_b32 s33, vcc_lo, s33
	global_load_b64 v[12:13], v11, s[20:21] scale_offset
	s_wait_loadcnt 0x0
	v_add_f64_e64 v[2:3], v[12:13], -v[2:3]
	global_store_b64 v11, v[2:3], s[20:21] scale_offset
	s_wait_xcnt 0x0
	s_and_not1_b32 exec_lo, exec_lo, s33
	s_cbranch_execz .LBB28_17
.LBB28_11:                              ;   Parent Loop BB28_3 Depth=1
                                        ; =>  This Loop Header: Depth=2
                                        ;       Child Loop BB28_13 Depth 3
	v_mov_b64_e32 v[2:3], 0
	s_delay_alu instid0(VALU_DEP_3)
	v_mov_b32_e32 v11, v7
	s_mov_b32 s34, 0
	s_branch .LBB28_13
.LBB28_12:                              ;   in Loop: Header=BB28_13 Depth=3
	global_load_b64 v[14:15], v12, s[16:17] scale_offset
	global_load_b64 v[16:17], v11, s[20:21] scale_offset
	s_wait_xcnt 0x0
	v_add_nc_u32_e32 v11, s22, v11
	s_add_co_i32 s34, s34, 1
	s_delay_alu instid0(SALU_CYCLE_1)
	s_cmp_eq_u32 s18, s34
	s_wait_loadcnt 0x0
	v_fmac_f64_e32 v[2:3], v[14:15], v[16:17]
	s_cbranch_scc1 .LBB28_10
.LBB28_13:                              ;   Parent Loop BB28_3 Depth=1
                                        ;     Parent Loop BB28_11 Depth=2
                                        ; =>    This Inner Loop Header: Depth=3
	s_and_b32 vcc_lo, exec_lo, s27
	s_cbranch_vccz .LBB28_15
; %bb.14:                               ;   in Loop: Header=BB28_13 Depth=3
	s_add_co_i32 s35, s34, s9
	s_delay_alu instid0(SALU_CYCLE_1)
	v_mad_u32 v12, s35, s18, v10
	s_cbranch_execnz .LBB28_12
	s_branch .LBB28_16
.LBB28_15:                              ;   in Loop: Header=BB28_13 Depth=3
                                        ; implicit-def: $vgpr12
.LBB28_16:                              ;   in Loop: Header=BB28_13 Depth=3
	v_add_nc_u32_e32 v12, s34, v9
	s_branch .LBB28_12
.LBB28_17:                              ;   in Loop: Header=BB28_3 Depth=1
	s_or_b32 exec_lo, exec_lo, s8
	s_add_co_i32 s9, s23, -1
	s_cmp_le_i32 s23, s26
	v_subrev_nc_u32_e32 v5, s30, v5
	s_cselect_b32 s8, -1, 0
	s_mov_b32 s23, s9
	s_and_b32 vcc_lo, exec_lo, s8
	s_cbranch_vccz .LBB28_3
	s_branch .LBB28_19
.LBB28_18:
	s_mov_b32 s28, s24
.LBB28_19:
	s_cmp_lt_i32 s6, s24
	v_cmp_gt_i32_e32 vcc_lo, s25, v1
	s_cselect_b32 s0, -1, 0
	s_cmp_eq_u32 s6, s28
	s_cselect_b32 s1, -1, 0
	s_delay_alu instid0(SALU_CYCLE_1) | instskip(SKIP_2) | instid1(SALU_CYCLE_1)
	s_and_b32 s1, vcc_lo, s1
	s_cmp_gt_i32 s18, 0
	s_cselect_b32 s8, -1, 0
	s_and_b32 s1, s1, s8
	s_mov_b32 s8, 0
	s_and_b32 s9, s1, s0
	s_wait_xcnt 0x0
	s_and_saveexec_b32 s1, s9
	s_cbranch_execz .LBB28_35
; %bb.20:
	v_add_nc_u32_e32 v2, s7, v8
	s_cmp_eq_u32 s13, 0
	s_mov_b32 s10, 0
	s_cselect_b32 s8, -1, 0
	s_cmp_lg_u32 s14, 0
	v_mul_lo_u32 v2, s22, v2
	s_cselect_b32 s9, -1, 0
	s_add_co_i32 s11, s23, 1
	s_delay_alu instid0(SALU_CYCLE_1) | instskip(SKIP_4) | instid1(VALU_DEP_1)
	s_mul_i32 s13, s18, s11
	s_mul_i32 s11, s23, s18
	s_add_co_i32 s14, s13, -1
	s_lshl_b32 s13, s22, 5
	s_mul_i32 s14, s18, s14
	v_add3_u32 v9, v4, v2, s19
	s_mov_b32 s19, s18
	v_mov_b64_e32 v[4:5], 1.0
	s_and_not1_b32 vcc_lo, exec_lo, s8
	s_add_co_i32 s23, s19, -1
	s_cbranch_vccnz .LBB28_22
.LBB28_21:
	s_add_co_i32 s24, s23, s11
	s_delay_alu instid0(SALU_CYCLE_1) | instskip(NEXT) | instid1(SALU_CYCLE_1)
	s_mul_i32 s24, s24, s18
	s_add_co_i32 s24, s24, s23
	s_wait_loadcnt 0x0
	v_mov_b32_e32 v2, s24
	global_load_b64 v[4:5], v2, s[16:17] scale_offset
.LBB28_22:                              ; =>This Loop Header: Depth=1
                                        ;     Child Loop BB28_27 Depth 2
	s_add_co_i32 s24, s23, s7
	s_wait_loadcnt 0x0
	s_delay_alu instid0(VALU_DEP_1)
	v_cmp_eq_f64_e32 vcc_lo, 0, v[4:5]
	v_mad_u32 v6, s24, s22, v1
	global_load_b64 v[2:3], v6, s[20:21] scale_offset
	s_cbranch_vccnz .LBB28_24
; %bb.23:                               ;   in Loop: Header=BB28_22 Depth=1
	s_wait_loadcnt 0x0
	v_div_scale_f64 v[10:11], null, v[4:5], v[4:5], v[2:3]
	v_ashrrev_i32_e32 v7, 31, v6
	s_delay_alu instid0(VALU_DEP_2) | instskip(SKIP_1) | instid1(TRANS32_DEP_1)
	v_rcp_f64_e32 v[12:13], v[10:11]
	v_nop
	v_fma_f64 v[14:15], -v[10:11], v[12:13], 1.0
	s_delay_alu instid0(VALU_DEP_1) | instskip(NEXT) | instid1(VALU_DEP_1)
	v_fmac_f64_e32 v[12:13], v[12:13], v[14:15]
	v_fma_f64 v[14:15], -v[10:11], v[12:13], 1.0
	s_delay_alu instid0(VALU_DEP_1) | instskip(SKIP_1) | instid1(VALU_DEP_1)
	v_fmac_f64_e32 v[12:13], v[12:13], v[14:15]
	v_div_scale_f64 v[14:15], vcc_lo, v[2:3], v[4:5], v[2:3]
	v_mul_f64_e32 v[16:17], v[14:15], v[12:13]
	s_delay_alu instid0(VALU_DEP_1) | instskip(NEXT) | instid1(VALU_DEP_1)
	v_fma_f64 v[10:11], -v[10:11], v[16:17], v[14:15]
	v_div_fmas_f64 v[10:11], v[10:11], v[12:13], v[16:17]
	s_delay_alu instid0(VALU_DEP_1)
	v_div_fixup_f64 v[2:3], v[10:11], v[4:5], v[2:3]
	v_lshl_add_u64 v[4:5], v[6:7], 3, s[20:21]
	global_store_b64 v[4:5], v[2:3], off
	s_mov_b32 s24, exec_lo
	s_wait_xcnt 0x0
	v_cmpx_gt_i32_e64 s23, v8
	s_cbranch_execnz .LBB28_25
	s_branch .LBB28_31
.LBB28_24:                              ;   in Loop: Header=BB28_22 Depth=1
	s_mov_b32 s10, -1
	s_mov_b32 s24, exec_lo
	s_wait_xcnt 0x0
	v_cmpx_gt_i32_e64 s23, v8
	s_cbranch_execz .LBB28_31
.LBB28_25:                              ;   in Loop: Header=BB28_22 Depth=1
	v_dual_mov_b32 v4, v9 :: v_dual_mov_b32 v5, v8
	s_mov_b32 s25, 0
	s_branch .LBB28_27
.LBB28_26:                              ;   in Loop: Header=BB28_27 Depth=2
	global_load_b64 v[10:11], v6, s[16:17] scale_offset
	global_load_b64 v[12:13], v4, s[20:21] scale_offset
	v_add_nc_u32_e32 v5, 32, v5
	s_delay_alu instid0(VALU_DEP_1)
	v_cmp_le_i32_e32 vcc_lo, s23, v5
	s_or_b32 s25, vcc_lo, s25
	s_wait_loadcnt 0x0
	s_wait_xcnt 0x1
	v_fma_f64 v[6:7], -v[2:3], v[10:11], v[12:13]
	global_store_b64 v4, v[6:7], s[20:21] scale_offset
	s_wait_xcnt 0x0
	v_add_nc_u32_e32 v4, s13, v4
	s_and_not1_b32 exec_lo, exec_lo, s25
	s_cbranch_execz .LBB28_31
.LBB28_27:                              ;   Parent Loop BB28_22 Depth=1
                                        ; =>  This Inner Loop Header: Depth=2
	s_and_b32 vcc_lo, exec_lo, s9
	s_cbranch_vccz .LBB28_29
; %bb.28:                               ;   in Loop: Header=BB28_27 Depth=2
	v_add_nc_u32_e32 v6, s14, v5
	s_cbranch_execnz .LBB28_26
	s_branch .LBB28_30
.LBB28_29:                              ;   in Loop: Header=BB28_27 Depth=2
                                        ; implicit-def: $vgpr6
.LBB28_30:                              ;   in Loop: Header=BB28_27 Depth=2
	v_add_nc_u32_e32 v6, s11, v5
	s_delay_alu instid0(VALU_DEP_1)
	v_mad_u32 v6, v6, s18, s23
	s_branch .LBB28_26
.LBB28_31:                              ;   in Loop: Header=BB28_22 Depth=1
	s_or_b32 exec_lo, exec_lo, s24
; %bb.32:                               ;   in Loop: Header=BB28_22 Depth=1
	s_sub_co_i32 s14, s14, s18
	s_cmp_lt_i32 s19, 2
	s_cbranch_scc1 .LBB28_34
; %bb.33:                               ;   in Loop: Header=BB28_22 Depth=1
	s_mov_b32 s19, s23
	v_mov_b64_e32 v[4:5], 1.0
	s_and_not1_b32 vcc_lo, exec_lo, s8
	s_add_co_i32 s23, s19, -1
	s_cbranch_vccnz .LBB28_22
	s_branch .LBB28_21
.LBB28_34:
	s_and_b32 s8, s10, exec_lo
.LBB28_35:
	s_or_b32 exec_lo, exec_lo, s1
	v_cmp_eq_u32_e32 vcc_lo, 0, v0
	global_wb scope:SCOPE_DEV
	s_wait_loadcnt 0x0
	s_wait_storecnt 0x0
	global_inv scope:SCOPE_DEV
	s_wait_loadcnt 0x0
	s_barrier_signal -1
	s_barrier_wait -1
	s_and_b32 s0, vcc_lo, s0
	s_delay_alu instid0(SALU_CYCLE_1)
	s_and_saveexec_b32 s1, s0
	s_cbranch_execz .LBB28_39
; %bb.36:
	s_add_co_i32 s0, s6, s15
	s_delay_alu instid0(SALU_CYCLE_1)
	v_dual_mov_b32 v0, 1 :: v_dual_mov_b32 v1, s0
	global_store_b32 v1, v0, s[4:5] scale_offset scope:SCOPE_DEV
	s_wait_xcnt 0x0
	s_and_b32 exec_lo, exec_lo, s8
	s_cbranch_execz .LBB28_39
; %bb.37:
	v_mbcnt_lo_u32_b32 v0, exec_lo, 0
	s_delay_alu instid0(VALU_DEP_1)
	v_cmp_eq_u32_e32 vcc_lo, 0, v0
	s_and_b32 exec_lo, exec_lo, vcc_lo
	s_cbranch_execz .LBB28_39
; %bb.38:
	s_add_co_i32 s0, s6, s12
	s_delay_alu instid0(SALU_CYCLE_1)
	v_dual_mov_b32 v0, 0 :: v_dual_mov_b32 v1, s0
	global_atomic_min_i32 v0, v1, s[2:3] scope:SCOPE_DEV
.LBB28_39:
	s_endpgm
	.section	.rodata,"a",@progbits
	.p2align	6, 0x0
	.amdhsa_kernel _ZN9rocsparseL24bsrsm_upper_large_kernelILj512ELj16ELb0EdEEviiPKiS2_PKT2_iPS3_iPiS2_S7_21rocsparse_index_base_20rocsparse_diag_type_20rocsparse_direction_
		.amdhsa_group_segment_fixed_size 0
		.amdhsa_private_segment_fixed_size 0
		.amdhsa_kernarg_size 92
		.amdhsa_user_sgpr_count 2
		.amdhsa_user_sgpr_dispatch_ptr 0
		.amdhsa_user_sgpr_queue_ptr 0
		.amdhsa_user_sgpr_kernarg_segment_ptr 1
		.amdhsa_user_sgpr_dispatch_id 0
		.amdhsa_user_sgpr_kernarg_preload_length 0
		.amdhsa_user_sgpr_kernarg_preload_offset 0
		.amdhsa_user_sgpr_private_segment_size 0
		.amdhsa_wavefront_size32 1
		.amdhsa_uses_dynamic_stack 0
		.amdhsa_enable_private_segment 0
		.amdhsa_system_sgpr_workgroup_id_x 1
		.amdhsa_system_sgpr_workgroup_id_y 0
		.amdhsa_system_sgpr_workgroup_id_z 0
		.amdhsa_system_sgpr_workgroup_info 0
		.amdhsa_system_vgpr_workitem_id 0
		.amdhsa_next_free_vgpr 18
		.amdhsa_next_free_sgpr 36
		.amdhsa_named_barrier_count 0
		.amdhsa_reserve_vcc 1
		.amdhsa_float_round_mode_32 0
		.amdhsa_float_round_mode_16_64 0
		.amdhsa_float_denorm_mode_32 3
		.amdhsa_float_denorm_mode_16_64 3
		.amdhsa_fp16_overflow 0
		.amdhsa_memory_ordered 1
		.amdhsa_forward_progress 1
		.amdhsa_inst_pref_size 13
		.amdhsa_round_robin_scheduling 0
		.amdhsa_exception_fp_ieee_invalid_op 0
		.amdhsa_exception_fp_denorm_src 0
		.amdhsa_exception_fp_ieee_div_zero 0
		.amdhsa_exception_fp_ieee_overflow 0
		.amdhsa_exception_fp_ieee_underflow 0
		.amdhsa_exception_fp_ieee_inexact 0
		.amdhsa_exception_int_div_zero 0
	.end_amdhsa_kernel
	.section	.text._ZN9rocsparseL24bsrsm_upper_large_kernelILj512ELj16ELb0EdEEviiPKiS2_PKT2_iPS3_iPiS2_S7_21rocsparse_index_base_20rocsparse_diag_type_20rocsparse_direction_,"axG",@progbits,_ZN9rocsparseL24bsrsm_upper_large_kernelILj512ELj16ELb0EdEEviiPKiS2_PKT2_iPS3_iPiS2_S7_21rocsparse_index_base_20rocsparse_diag_type_20rocsparse_direction_,comdat
.Lfunc_end28:
	.size	_ZN9rocsparseL24bsrsm_upper_large_kernelILj512ELj16ELb0EdEEviiPKiS2_PKT2_iPS3_iPiS2_S7_21rocsparse_index_base_20rocsparse_diag_type_20rocsparse_direction_, .Lfunc_end28-_ZN9rocsparseL24bsrsm_upper_large_kernelILj512ELj16ELb0EdEEviiPKiS2_PKT2_iPS3_iPiS2_S7_21rocsparse_index_base_20rocsparse_diag_type_20rocsparse_direction_
                                        ; -- End function
	.set _ZN9rocsparseL24bsrsm_upper_large_kernelILj512ELj16ELb0EdEEviiPKiS2_PKT2_iPS3_iPiS2_S7_21rocsparse_index_base_20rocsparse_diag_type_20rocsparse_direction_.num_vgpr, 18
	.set _ZN9rocsparseL24bsrsm_upper_large_kernelILj512ELj16ELb0EdEEviiPKiS2_PKT2_iPS3_iPiS2_S7_21rocsparse_index_base_20rocsparse_diag_type_20rocsparse_direction_.num_agpr, 0
	.set _ZN9rocsparseL24bsrsm_upper_large_kernelILj512ELj16ELb0EdEEviiPKiS2_PKT2_iPS3_iPiS2_S7_21rocsparse_index_base_20rocsparse_diag_type_20rocsparse_direction_.numbered_sgpr, 36
	.set _ZN9rocsparseL24bsrsm_upper_large_kernelILj512ELj16ELb0EdEEviiPKiS2_PKT2_iPS3_iPiS2_S7_21rocsparse_index_base_20rocsparse_diag_type_20rocsparse_direction_.num_named_barrier, 0
	.set _ZN9rocsparseL24bsrsm_upper_large_kernelILj512ELj16ELb0EdEEviiPKiS2_PKT2_iPS3_iPiS2_S7_21rocsparse_index_base_20rocsparse_diag_type_20rocsparse_direction_.private_seg_size, 0
	.set _ZN9rocsparseL24bsrsm_upper_large_kernelILj512ELj16ELb0EdEEviiPKiS2_PKT2_iPS3_iPiS2_S7_21rocsparse_index_base_20rocsparse_diag_type_20rocsparse_direction_.uses_vcc, 1
	.set _ZN9rocsparseL24bsrsm_upper_large_kernelILj512ELj16ELb0EdEEviiPKiS2_PKT2_iPS3_iPiS2_S7_21rocsparse_index_base_20rocsparse_diag_type_20rocsparse_direction_.uses_flat_scratch, 0
	.set _ZN9rocsparseL24bsrsm_upper_large_kernelILj512ELj16ELb0EdEEviiPKiS2_PKT2_iPS3_iPiS2_S7_21rocsparse_index_base_20rocsparse_diag_type_20rocsparse_direction_.has_dyn_sized_stack, 0
	.set _ZN9rocsparseL24bsrsm_upper_large_kernelILj512ELj16ELb0EdEEviiPKiS2_PKT2_iPS3_iPiS2_S7_21rocsparse_index_base_20rocsparse_diag_type_20rocsparse_direction_.has_recursion, 0
	.set _ZN9rocsparseL24bsrsm_upper_large_kernelILj512ELj16ELb0EdEEviiPKiS2_PKT2_iPS3_iPiS2_S7_21rocsparse_index_base_20rocsparse_diag_type_20rocsparse_direction_.has_indirect_call, 0
	.section	.AMDGPU.csdata,"",@progbits
; Kernel info:
; codeLenInByte = 1600
; TotalNumSgprs: 38
; NumVgprs: 18
; ScratchSize: 0
; MemoryBound: 0
; FloatMode: 240
; IeeeMode: 1
; LDSByteSize: 0 bytes/workgroup (compile time only)
; SGPRBlocks: 0
; VGPRBlocks: 1
; NumSGPRsForWavesPerEU: 38
; NumVGPRsForWavesPerEU: 18
; NamedBarCnt: 0
; Occupancy: 16
; WaveLimiterHint : 1
; COMPUTE_PGM_RSRC2:SCRATCH_EN: 0
; COMPUTE_PGM_RSRC2:USER_SGPR: 2
; COMPUTE_PGM_RSRC2:TRAP_HANDLER: 0
; COMPUTE_PGM_RSRC2:TGID_X_EN: 1
; COMPUTE_PGM_RSRC2:TGID_Y_EN: 0
; COMPUTE_PGM_RSRC2:TGID_Z_EN: 0
; COMPUTE_PGM_RSRC2:TIDIG_COMP_CNT: 0
	.section	.text._ZN9rocsparseL24bsrsm_lower_large_kernelILj512ELj16ELb0EdEEviiPKiS2_PKT2_iPS3_iPiS2_S7_21rocsparse_index_base_20rocsparse_diag_type_20rocsparse_direction_,"axG",@progbits,_ZN9rocsparseL24bsrsm_lower_large_kernelILj512ELj16ELb0EdEEviiPKiS2_PKT2_iPS3_iPiS2_S7_21rocsparse_index_base_20rocsparse_diag_type_20rocsparse_direction_,comdat
	.globl	_ZN9rocsparseL24bsrsm_lower_large_kernelILj512ELj16ELb0EdEEviiPKiS2_PKT2_iPS3_iPiS2_S7_21rocsparse_index_base_20rocsparse_diag_type_20rocsparse_direction_ ; -- Begin function _ZN9rocsparseL24bsrsm_lower_large_kernelILj512ELj16ELb0EdEEviiPKiS2_PKT2_iPS3_iPiS2_S7_21rocsparse_index_base_20rocsparse_diag_type_20rocsparse_direction_
	.p2align	8
	.type	_ZN9rocsparseL24bsrsm_lower_large_kernelILj512ELj16ELb0EdEEviiPKiS2_PKT2_iPS3_iPiS2_S7_21rocsparse_index_base_20rocsparse_diag_type_20rocsparse_direction_,@function
_ZN9rocsparseL24bsrsm_lower_large_kernelILj512ELj16ELb0EdEEviiPKiS2_PKT2_iPS3_iPiS2_S7_21rocsparse_index_base_20rocsparse_diag_type_20rocsparse_direction_: ; @_ZN9rocsparseL24bsrsm_lower_large_kernelILj512ELj16ELb0EdEEviiPKiS2_PKT2_iPS3_iPiS2_S7_21rocsparse_index_base_20rocsparse_diag_type_20rocsparse_direction_
; %bb.0:
	s_clause 0x1
	s_load_b64 s[24:25], s[0:1], 0x0
	s_load_b128 s[8:11], s[0:1], 0x8
	s_bfe_u32 s4, ttmp6, 0x4000c
	s_and_b32 s3, ttmp6, 15
	s_add_co_i32 s4, s4, 1
	s_getreg_b32 s5, hwreg(HW_REG_IB_STS2, 6, 4)
	s_mul_i32 s4, ttmp9, s4
	v_dual_lshrrev_b32 v4, 5, v0 :: v_dual_bitop2_b32 v5, 31, v0 bitop3:0x40
	s_add_co_i32 s3, s3, s4
	s_wait_kmcnt 0x0
	s_cvt_f32_u32 s2, s24
	s_sub_co_i32 s6, 0, s24
	s_delay_alu instid0(SALU_CYCLE_2) | instskip(SKIP_1) | instid1(TRANS32_DEP_1)
	v_rcp_iflag_f32_e32 v1, s2
	v_nop
	v_readfirstlane_b32 s2, v1
	s_mul_f32 s2, s2, 0x4f7ffffe
	s_delay_alu instid0(SALU_CYCLE_3) | instskip(NEXT) | instid1(SALU_CYCLE_3)
	s_cvt_u32_f32 s2, s2
	s_mul_i32 s6, s6, s2
	s_delay_alu instid0(SALU_CYCLE_1) | instskip(NEXT) | instid1(SALU_CYCLE_1)
	s_mul_hi_u32 s6, s2, s6
	s_add_co_i32 s2, s2, s6
	s_cmp_eq_u32 s5, 0
	s_load_b128 s[4:7], s[0:1], 0x38
	s_cselect_b32 s3, ttmp9, s3
	s_delay_alu instid0(SALU_CYCLE_1) | instskip(NEXT) | instid1(SALU_CYCLE_1)
	s_mul_hi_u32 s2, s3, s2
	s_mul_i32 s12, s2, s24
	s_add_co_i32 s13, s2, 1
	s_sub_co_i32 s12, s3, s12
	s_delay_alu instid0(SALU_CYCLE_1)
	s_sub_co_i32 s14, s12, s24
	s_cmp_ge_u32 s12, s24
	s_cselect_b32 s2, s13, s2
	s_cselect_b32 s12, s14, s12
	s_add_co_i32 s13, s2, 1
	s_cmp_ge_u32 s12, s24
	s_cselect_b32 s19, s13, s2
	s_delay_alu instid0(SALU_CYCLE_1) | instskip(SKIP_4) | instid1(SALU_CYCLE_1)
	s_mul_i32 s15, s19, s24
	s_lshl_b32 s19, s19, 4
	s_sub_co_i32 s2, s3, s15
	v_or_b32_e32 v1, s19, v4
	s_ashr_i32 s3, s2, 31
	s_lshl_b64 s[12:13], s[2:3], 2
	s_load_b64 s[2:3], s[0:1], 0x48
	s_wait_kmcnt 0x0
	s_add_nc_u64 s[6:7], s[6:7], s[12:13]
	v_cmp_gt_i32_e32 vcc_lo, s25, v1
	s_load_b32 s6, s[6:7], 0x0
	s_wait_kmcnt 0x0
	s_ashr_i32 s7, s6, 31
	s_delay_alu instid0(SALU_CYCLE_1) | instskip(NEXT) | instid1(SALU_CYCLE_1)
	s_lshl_b64 s[12:13], s[6:7], 2
	s_add_nc_u64 s[26:27], s[8:9], s[12:13]
	s_load_b96 s[12:14], s[0:1], 0x50
	s_load_b64 s[8:9], s[26:27], 0x0
	s_clause 0x1
	s_load_b96 s[16:18], s[0:1], 0x18
	s_load_b96 s[20:22], s[0:1], 0x28
	s_wait_xcnt 0x0
	v_cmp_eq_u32_e64 s0, 0, v0
	s_wait_kmcnt 0x0
	s_sub_co_i32 s23, s8, s12
	s_cmp_ge_i32 s8, s9
	s_mul_i32 s7, s6, s18
	s_mul_i32 s26, s18, s18
	s_cbranch_scc1 .LBB29_18
; %bb.1:
	v_mad_u32 v2, s18, s23, v5
	v_cmp_gt_i32_e64 s1, s18, v5
	s_sub_co_i32 s27, s9, s12
	v_mov_b32_e32 v7, 0
	s_cmp_lg_u32 s14, 0
	s_mul_i32 s30, s22, s18
	s_cselect_b32 s28, -1, 0
	s_and_b32 s29, vcc_lo, s1
	s_lshl_b32 s31, s18, 5
	v_mul_lo_u32 v6, s18, v2
	s_branch .LBB29_3
.LBB29_2:                               ;   in Loop: Header=BB29_3 Depth=1
                                        ; implicit-def: $vgpr6
	s_and_b32 vcc_lo, exec_lo, s8
	s_cbranch_vccnz .LBB29_19
.LBB29_3:                               ; =>This Loop Header: Depth=1
                                        ;     Child Loop BB29_7 Depth 2
                                        ;     Child Loop BB29_11 Depth 2
                                        ;       Child Loop BB29_13 Depth 3
	s_wait_xcnt 0x0
	v_mov_b32_e32 v2, s23
	s_mov_b32 s8, -1
	global_load_b32 v2, v2, s[10:11] scale_offset
	s_wait_loadcnt 0x0
	v_readfirstlane_b32 s1, v2
	s_sub_co_i32 s1, s1, s12
	s_delay_alu instid0(SALU_CYCLE_1)
	s_cmp_ge_i32 s1, s6
	s_cbranch_scc1 .LBB29_2
; %bb.4:                                ;   in Loop: Header=BB29_3 Depth=1
	s_wait_xcnt 0x0
	s_and_saveexec_b32 s33, s0
	s_cbranch_execz .LBB29_8
; %bb.5:                                ;   in Loop: Header=BB29_3 Depth=1
	s_add_co_i32 s8, s1, s15
	s_delay_alu instid0(SALU_CYCLE_1)
	v_mov_b32_e32 v2, s8
	global_load_b32 v2, v2, s[4:5] scale_offset scope:SCOPE_DEV
	s_wait_loadcnt 0x0
	v_cmp_ne_u32_e32 vcc_lo, 0, v2
	s_cbranch_vccnz .LBB29_8
; %bb.6:                                ;   in Loop: Header=BB29_3 Depth=1
	s_ashr_i32 s9, s8, 31
	s_delay_alu instid0(SALU_CYCLE_1) | instskip(NEXT) | instid1(SALU_CYCLE_1)
	s_lshl_b64 s[8:9], s[8:9], 2
	s_add_nc_u64 s[8:9], s[4:5], s[8:9]
.LBB29_7:                               ;   Parent Loop BB29_3 Depth=1
                                        ; =>  This Inner Loop Header: Depth=2
	global_load_b32 v2, v7, s[8:9] scope:SCOPE_DEV
	s_wait_loadcnt 0x0
	v_cmp_eq_u32_e32 vcc_lo, 0, v2
	s_cbranch_vccnz .LBB29_7
.LBB29_8:                               ;   in Loop: Header=BB29_3 Depth=1
	s_wait_xcnt 0x0
	s_or_b32 exec_lo, exec_lo, s33
	global_wb scope:SCOPE_DEV
	s_wait_storecnt 0x0
	global_inv scope:SCOPE_DEV
	s_wait_loadcnt 0x0
	s_barrier_signal -1
	s_barrier_wait -1
	s_and_saveexec_b32 s8, s29
	s_cbranch_execz .LBB29_17
; %bb.9:                                ;   in Loop: Header=BB29_3 Depth=1
	v_mad_u32 v8, s30, s1, v1
	v_dual_mov_b32 v9, v6 :: v_dual_mov_b32 v10, v5
	s_mul_i32 s9, s23, s18
	s_mov_b32 s33, 0
	s_branch .LBB29_11
.LBB29_10:                              ;   in Loop: Header=BB29_11 Depth=2
	v_dual_add_nc_u32 v11, s7, v10 :: v_dual_add_nc_u32 v10, 32, v10
	v_add_nc_u32_e32 v9, s31, v9
	s_delay_alu instid0(VALU_DEP_2) | instskip(NEXT) | instid1(VALU_DEP_3)
	v_mad_u32 v11, v11, s22, v1
	v_cmp_le_i32_e32 vcc_lo, s18, v10
	s_or_b32 s33, vcc_lo, s33
	global_load_b64 v[12:13], v11, s[20:21] scale_offset
	s_wait_loadcnt 0x0
	v_add_f64_e64 v[2:3], v[12:13], -v[2:3]
	global_store_b64 v11, v[2:3], s[20:21] scale_offset
	s_wait_xcnt 0x0
	s_and_not1_b32 exec_lo, exec_lo, s33
	s_cbranch_execz .LBB29_17
.LBB29_11:                              ;   Parent Loop BB29_3 Depth=1
                                        ; =>  This Loop Header: Depth=2
                                        ;       Child Loop BB29_13 Depth 3
	v_mov_b64_e32 v[2:3], 0
	s_delay_alu instid0(VALU_DEP_3)
	v_mov_b32_e32 v11, v8
	s_mov_b32 s34, 0
	s_branch .LBB29_13
.LBB29_12:                              ;   in Loop: Header=BB29_13 Depth=3
	global_load_b64 v[14:15], v12, s[16:17] scale_offset
	global_load_b64 v[16:17], v11, s[20:21] scale_offset
	s_wait_xcnt 0x0
	v_add_nc_u32_e32 v11, s22, v11
	s_add_co_i32 s34, s34, 1
	s_delay_alu instid0(SALU_CYCLE_1)
	s_cmp_eq_u32 s18, s34
	s_wait_loadcnt 0x0
	v_fmac_f64_e32 v[2:3], v[14:15], v[16:17]
	s_cbranch_scc1 .LBB29_10
.LBB29_13:                              ;   Parent Loop BB29_3 Depth=1
                                        ;     Parent Loop BB29_11 Depth=2
                                        ; =>    This Inner Loop Header: Depth=3
	s_and_b32 vcc_lo, exec_lo, s28
	s_cbranch_vccz .LBB29_15
; %bb.14:                               ;   in Loop: Header=BB29_13 Depth=3
	s_add_co_i32 s35, s34, s9
	s_delay_alu instid0(SALU_CYCLE_1)
	v_mad_u32 v12, s35, s18, v10
	s_cbranch_execnz .LBB29_12
	s_branch .LBB29_16
.LBB29_15:                              ;   in Loop: Header=BB29_13 Depth=3
                                        ; implicit-def: $vgpr12
.LBB29_16:                              ;   in Loop: Header=BB29_13 Depth=3
	v_add_nc_u32_e32 v12, s34, v9
	s_branch .LBB29_12
.LBB29_17:                              ;   in Loop: Header=BB29_3 Depth=1
	s_or_b32 exec_lo, exec_lo, s8
	s_add_co_i32 s23, s23, 1
	v_add_nc_u32_e32 v6, s26, v6
	s_cmp_ge_i32 s23, s27
	s_cselect_b32 s8, -1, 0
	s_delay_alu instid0(SALU_CYCLE_1)
	s_and_b32 vcc_lo, exec_lo, s8
	s_cbranch_vccz .LBB29_3
	s_branch .LBB29_19
.LBB29_18:
	s_mov_b32 s1, s24
.LBB29_19:
	s_cmp_lt_i32 s6, s24
	v_cmp_gt_i32_e32 vcc_lo, s25, v1
	s_cselect_b32 s0, -1, 0
	s_cmp_eq_u32 s6, s1
	s_cselect_b32 s1, -1, 0
	s_delay_alu instid0(SALU_CYCLE_1) | instskip(SKIP_2) | instid1(SALU_CYCLE_1)
	s_and_b32 s1, vcc_lo, s1
	s_cmp_gt_i32 s18, 0
	s_cselect_b32 s8, -1, 0
	s_and_b32 s1, s1, s8
	s_mov_b32 s8, 0
	s_and_b32 s9, s1, s0
	s_wait_xcnt 0x0
	s_and_saveexec_b32 s1, s9
	s_cbranch_execz .LBB29_34
; %bb.20:
	v_dual_add_nc_u32 v2, s7, v5 :: v_dual_add_nc_u32 v8, 1, v5
	s_cmp_eq_u32 s13, 0
	s_mul_i32 s10, s23, s18
	s_cselect_b32 s9, -1, 0
	s_delay_alu instid0(VALU_DEP_1)
	v_mad_u32 v2, s22, v2, s22
	s_cmp_lg_u32 s14, 0
	s_mul_i32 s14, s23, s26
	s_cselect_b32 s11, -1, 0
	s_lshl_b32 s13, s22, 5
	s_mov_b32 s23, 0
	s_delay_alu instid0(VALU_DEP_1)
	v_add3_u32 v9, v4, v2, s19
	s_add_co_i32 s19, s18, 1
	s_branch .LBB29_22
.LBB29_21:                              ;   in Loop: Header=BB29_22 Depth=1
	s_or_b32 exec_lo, exec_lo, s24
	v_add_nc_u32_e32 v9, s22, v9
	s_add_co_i32 s8, s8, 1
	s_add_co_i32 s14, s14, s19
	s_cmp_eq_u32 s8, s18
	s_cbranch_scc1 .LBB29_33
.LBB29_22:                              ; =>This Loop Header: Depth=1
                                        ;     Child Loop BB29_29 Depth 2
	v_mov_b64_e32 v[4:5], 1.0
	s_and_not1_b32 vcc_lo, exec_lo, s9
	s_cbranch_vccnz .LBB29_24
; %bb.23:                               ;   in Loop: Header=BB29_22 Depth=1
	s_add_co_i32 s24, s8, s10
	s_delay_alu instid0(SALU_CYCLE_1) | instskip(NEXT) | instid1(SALU_CYCLE_1)
	s_mul_i32 s24, s24, s18
	s_add_co_i32 s24, s24, s8
	s_wait_loadcnt 0x0
	v_mov_b32_e32 v2, s24
	global_load_b64 v[4:5], v2, s[16:17] scale_offset
.LBB29_24:                              ;   in Loop: Header=BB29_22 Depth=1
	s_add_co_i32 s24, s8, s7
	s_wait_loadcnt 0x0
	s_delay_alu instid0(VALU_DEP_1)
	v_cmp_eq_f64_e32 vcc_lo, 0, v[4:5]
	v_mad_u32 v6, s24, s22, v1
	global_load_b64 v[2:3], v6, s[20:21] scale_offset
	s_cbranch_vccnz .LBB29_26
; %bb.25:                               ;   in Loop: Header=BB29_22 Depth=1
	s_wait_loadcnt 0x0
	v_div_scale_f64 v[10:11], null, v[4:5], v[4:5], v[2:3]
	v_ashrrev_i32_e32 v7, 31, v6
	s_delay_alu instid0(VALU_DEP_2) | instskip(SKIP_1) | instid1(TRANS32_DEP_1)
	v_rcp_f64_e32 v[12:13], v[10:11]
	v_nop
	v_fma_f64 v[14:15], -v[10:11], v[12:13], 1.0
	s_delay_alu instid0(VALU_DEP_1) | instskip(NEXT) | instid1(VALU_DEP_1)
	v_fmac_f64_e32 v[12:13], v[12:13], v[14:15]
	v_fma_f64 v[14:15], -v[10:11], v[12:13], 1.0
	s_delay_alu instid0(VALU_DEP_1) | instskip(SKIP_1) | instid1(VALU_DEP_1)
	v_fmac_f64_e32 v[12:13], v[12:13], v[14:15]
	v_div_scale_f64 v[14:15], vcc_lo, v[2:3], v[4:5], v[2:3]
	v_mul_f64_e32 v[16:17], v[14:15], v[12:13]
	s_delay_alu instid0(VALU_DEP_1) | instskip(NEXT) | instid1(VALU_DEP_1)
	v_fma_f64 v[10:11], -v[10:11], v[16:17], v[14:15]
	v_div_fmas_f64 v[10:11], v[10:11], v[12:13], v[16:17]
	s_delay_alu instid0(VALU_DEP_1)
	v_div_fixup_f64 v[2:3], v[10:11], v[4:5], v[2:3]
	v_lshl_add_u64 v[4:5], v[6:7], 3, s[20:21]
	global_store_b64 v[4:5], v[2:3], off
	s_wait_xcnt 0x0
	v_add_nc_u32_e32 v4, s8, v8
	s_mov_b32 s24, exec_lo
	s_delay_alu instid0(VALU_DEP_1)
	v_cmpx_gt_i32_e64 s18, v4
	s_cbranch_execz .LBB29_21
	s_branch .LBB29_27
.LBB29_26:                              ;   in Loop: Header=BB29_22 Depth=1
	s_mov_b32 s23, -1
	v_add_nc_u32_e32 v4, s8, v8
	s_mov_b32 s24, exec_lo
	s_wait_xcnt 0x0
	s_delay_alu instid0(VALU_DEP_1)
	v_cmpx_gt_i32_e64 s18, v4
	s_cbranch_execz .LBB29_21
.LBB29_27:                              ;   in Loop: Header=BB29_22 Depth=1
	v_dual_mov_b32 v5, v9 :: v_dual_mov_b32 v6, v8
	s_mov_b32 s25, 0
	s_branch .LBB29_29
.LBB29_28:                              ;   in Loop: Header=BB29_29 Depth=2
	global_load_b64 v[10:11], v7, s[16:17] scale_offset
	global_load_b64 v[12:13], v5, s[20:21] scale_offset
	v_dual_add_nc_u32 v6, 32, v6 :: v_dual_add_nc_u32 v4, 32, v4
	s_wait_loadcnt 0x0
	v_fma_f64 v[10:11], -v[2:3], v[10:11], v[12:13]
	global_store_b64 v5, v[10:11], s[20:21] scale_offset
	s_wait_xcnt 0x0
	v_dual_add_nc_u32 v5, s13, v5 :: v_dual_add_nc_u32 v7, s8, v6
	s_delay_alu instid0(VALU_DEP_1) | instskip(SKIP_1) | instid1(SALU_CYCLE_1)
	v_cmp_le_i32_e32 vcc_lo, s18, v7
	s_or_b32 s25, vcc_lo, s25
	s_and_not1_b32 exec_lo, exec_lo, s25
	s_cbranch_execz .LBB29_21
.LBB29_29:                              ;   Parent Loop BB29_22 Depth=1
                                        ; =>  This Inner Loop Header: Depth=2
	s_and_b32 vcc_lo, exec_lo, s11
	s_cbranch_vccz .LBB29_31
; %bb.30:                               ;   in Loop: Header=BB29_29 Depth=2
	v_add_nc_u32_e32 v7, s14, v6
	s_cbranch_execnz .LBB29_28
	s_branch .LBB29_32
.LBB29_31:                              ;   in Loop: Header=BB29_29 Depth=2
                                        ; implicit-def: $vgpr7
.LBB29_32:                              ;   in Loop: Header=BB29_29 Depth=2
	v_add_nc_u32_e32 v7, s10, v4
	s_delay_alu instid0(VALU_DEP_1)
	v_mad_u32 v7, v7, s18, s8
	s_branch .LBB29_28
.LBB29_33:
	s_and_b32 s8, s23, exec_lo
.LBB29_34:
	s_or_b32 exec_lo, exec_lo, s1
	v_cmp_eq_u32_e32 vcc_lo, 0, v0
	global_wb scope:SCOPE_DEV
	s_wait_loadcnt 0x0
	s_wait_storecnt 0x0
	global_inv scope:SCOPE_DEV
	s_wait_loadcnt 0x0
	s_barrier_signal -1
	s_barrier_wait -1
	s_and_b32 s0, vcc_lo, s0
	s_delay_alu instid0(SALU_CYCLE_1)
	s_and_saveexec_b32 s1, s0
	s_cbranch_execz .LBB29_38
; %bb.35:
	s_add_co_i32 s0, s6, s15
	s_delay_alu instid0(SALU_CYCLE_1)
	v_dual_mov_b32 v0, 1 :: v_dual_mov_b32 v1, s0
	global_store_b32 v1, v0, s[4:5] scale_offset scope:SCOPE_DEV
	s_wait_xcnt 0x0
	s_and_b32 exec_lo, exec_lo, s8
	s_cbranch_execz .LBB29_38
; %bb.36:
	v_mbcnt_lo_u32_b32 v0, exec_lo, 0
	s_delay_alu instid0(VALU_DEP_1)
	v_cmp_eq_u32_e32 vcc_lo, 0, v0
	s_and_b32 exec_lo, exec_lo, vcc_lo
	s_cbranch_execz .LBB29_38
; %bb.37:
	s_add_co_i32 s0, s6, s12
	s_delay_alu instid0(SALU_CYCLE_1)
	v_dual_mov_b32 v0, 0 :: v_dual_mov_b32 v1, s0
	global_atomic_min_i32 v0, v1, s[2:3] scope:SCOPE_DEV
.LBB29_38:
	s_endpgm
	.section	.rodata,"a",@progbits
	.p2align	6, 0x0
	.amdhsa_kernel _ZN9rocsparseL24bsrsm_lower_large_kernelILj512ELj16ELb0EdEEviiPKiS2_PKT2_iPS3_iPiS2_S7_21rocsparse_index_base_20rocsparse_diag_type_20rocsparse_direction_
		.amdhsa_group_segment_fixed_size 0
		.amdhsa_private_segment_fixed_size 0
		.amdhsa_kernarg_size 92
		.amdhsa_user_sgpr_count 2
		.amdhsa_user_sgpr_dispatch_ptr 0
		.amdhsa_user_sgpr_queue_ptr 0
		.amdhsa_user_sgpr_kernarg_segment_ptr 1
		.amdhsa_user_sgpr_dispatch_id 0
		.amdhsa_user_sgpr_kernarg_preload_length 0
		.amdhsa_user_sgpr_kernarg_preload_offset 0
		.amdhsa_user_sgpr_private_segment_size 0
		.amdhsa_wavefront_size32 1
		.amdhsa_uses_dynamic_stack 0
		.amdhsa_enable_private_segment 0
		.amdhsa_system_sgpr_workgroup_id_x 1
		.amdhsa_system_sgpr_workgroup_id_y 0
		.amdhsa_system_sgpr_workgroup_id_z 0
		.amdhsa_system_sgpr_workgroup_info 0
		.amdhsa_system_vgpr_workitem_id 0
		.amdhsa_next_free_vgpr 18
		.amdhsa_next_free_sgpr 36
		.amdhsa_named_barrier_count 0
		.amdhsa_reserve_vcc 1
		.amdhsa_float_round_mode_32 0
		.amdhsa_float_round_mode_16_64 0
		.amdhsa_float_denorm_mode_32 3
		.amdhsa_float_denorm_mode_16_64 3
		.amdhsa_fp16_overflow 0
		.amdhsa_memory_ordered 1
		.amdhsa_forward_progress 1
		.amdhsa_inst_pref_size 13
		.amdhsa_round_robin_scheduling 0
		.amdhsa_exception_fp_ieee_invalid_op 0
		.amdhsa_exception_fp_denorm_src 0
		.amdhsa_exception_fp_ieee_div_zero 0
		.amdhsa_exception_fp_ieee_overflow 0
		.amdhsa_exception_fp_ieee_underflow 0
		.amdhsa_exception_fp_ieee_inexact 0
		.amdhsa_exception_int_div_zero 0
	.end_amdhsa_kernel
	.section	.text._ZN9rocsparseL24bsrsm_lower_large_kernelILj512ELj16ELb0EdEEviiPKiS2_PKT2_iPS3_iPiS2_S7_21rocsparse_index_base_20rocsparse_diag_type_20rocsparse_direction_,"axG",@progbits,_ZN9rocsparseL24bsrsm_lower_large_kernelILj512ELj16ELb0EdEEviiPKiS2_PKT2_iPS3_iPiS2_S7_21rocsparse_index_base_20rocsparse_diag_type_20rocsparse_direction_,comdat
.Lfunc_end29:
	.size	_ZN9rocsparseL24bsrsm_lower_large_kernelILj512ELj16ELb0EdEEviiPKiS2_PKT2_iPS3_iPiS2_S7_21rocsparse_index_base_20rocsparse_diag_type_20rocsparse_direction_, .Lfunc_end29-_ZN9rocsparseL24bsrsm_lower_large_kernelILj512ELj16ELb0EdEEviiPKiS2_PKT2_iPS3_iPiS2_S7_21rocsparse_index_base_20rocsparse_diag_type_20rocsparse_direction_
                                        ; -- End function
	.set _ZN9rocsparseL24bsrsm_lower_large_kernelILj512ELj16ELb0EdEEviiPKiS2_PKT2_iPS3_iPiS2_S7_21rocsparse_index_base_20rocsparse_diag_type_20rocsparse_direction_.num_vgpr, 18
	.set _ZN9rocsparseL24bsrsm_lower_large_kernelILj512ELj16ELb0EdEEviiPKiS2_PKT2_iPS3_iPiS2_S7_21rocsparse_index_base_20rocsparse_diag_type_20rocsparse_direction_.num_agpr, 0
	.set _ZN9rocsparseL24bsrsm_lower_large_kernelILj512ELj16ELb0EdEEviiPKiS2_PKT2_iPS3_iPiS2_S7_21rocsparse_index_base_20rocsparse_diag_type_20rocsparse_direction_.numbered_sgpr, 36
	.set _ZN9rocsparseL24bsrsm_lower_large_kernelILj512ELj16ELb0EdEEviiPKiS2_PKT2_iPS3_iPiS2_S7_21rocsparse_index_base_20rocsparse_diag_type_20rocsparse_direction_.num_named_barrier, 0
	.set _ZN9rocsparseL24bsrsm_lower_large_kernelILj512ELj16ELb0EdEEviiPKiS2_PKT2_iPS3_iPiS2_S7_21rocsparse_index_base_20rocsparse_diag_type_20rocsparse_direction_.private_seg_size, 0
	.set _ZN9rocsparseL24bsrsm_lower_large_kernelILj512ELj16ELb0EdEEviiPKiS2_PKT2_iPS3_iPiS2_S7_21rocsparse_index_base_20rocsparse_diag_type_20rocsparse_direction_.uses_vcc, 1
	.set _ZN9rocsparseL24bsrsm_lower_large_kernelILj512ELj16ELb0EdEEviiPKiS2_PKT2_iPS3_iPiS2_S7_21rocsparse_index_base_20rocsparse_diag_type_20rocsparse_direction_.uses_flat_scratch, 0
	.set _ZN9rocsparseL24bsrsm_lower_large_kernelILj512ELj16ELb0EdEEviiPKiS2_PKT2_iPS3_iPiS2_S7_21rocsparse_index_base_20rocsparse_diag_type_20rocsparse_direction_.has_dyn_sized_stack, 0
	.set _ZN9rocsparseL24bsrsm_lower_large_kernelILj512ELj16ELb0EdEEviiPKiS2_PKT2_iPS3_iPiS2_S7_21rocsparse_index_base_20rocsparse_diag_type_20rocsparse_direction_.has_recursion, 0
	.set _ZN9rocsparseL24bsrsm_lower_large_kernelILj512ELj16ELb0EdEEviiPKiS2_PKT2_iPS3_iPiS2_S7_21rocsparse_index_base_20rocsparse_diag_type_20rocsparse_direction_.has_indirect_call, 0
	.section	.AMDGPU.csdata,"",@progbits
; Kernel info:
; codeLenInByte = 1616
; TotalNumSgprs: 38
; NumVgprs: 18
; ScratchSize: 0
; MemoryBound: 0
; FloatMode: 240
; IeeeMode: 1
; LDSByteSize: 0 bytes/workgroup (compile time only)
; SGPRBlocks: 0
; VGPRBlocks: 1
; NumSGPRsForWavesPerEU: 38
; NumVGPRsForWavesPerEU: 18
; NamedBarCnt: 0
; Occupancy: 16
; WaveLimiterHint : 1
; COMPUTE_PGM_RSRC2:SCRATCH_EN: 0
; COMPUTE_PGM_RSRC2:USER_SGPR: 2
; COMPUTE_PGM_RSRC2:TRAP_HANDLER: 0
; COMPUTE_PGM_RSRC2:TGID_X_EN: 1
; COMPUTE_PGM_RSRC2:TGID_Y_EN: 0
; COMPUTE_PGM_RSRC2:TGID_Z_EN: 0
; COMPUTE_PGM_RSRC2:TIDIG_COMP_CNT: 0
	.section	.text._ZN9rocsparseL24bsrsm_upper_large_kernelILj1024ELj16ELb0EdEEviiPKiS2_PKT2_iPS3_iPiS2_S7_21rocsparse_index_base_20rocsparse_diag_type_20rocsparse_direction_,"axG",@progbits,_ZN9rocsparseL24bsrsm_upper_large_kernelILj1024ELj16ELb0EdEEviiPKiS2_PKT2_iPS3_iPiS2_S7_21rocsparse_index_base_20rocsparse_diag_type_20rocsparse_direction_,comdat
	.globl	_ZN9rocsparseL24bsrsm_upper_large_kernelILj1024ELj16ELb0EdEEviiPKiS2_PKT2_iPS3_iPiS2_S7_21rocsparse_index_base_20rocsparse_diag_type_20rocsparse_direction_ ; -- Begin function _ZN9rocsparseL24bsrsm_upper_large_kernelILj1024ELj16ELb0EdEEviiPKiS2_PKT2_iPS3_iPiS2_S7_21rocsparse_index_base_20rocsparse_diag_type_20rocsparse_direction_
	.p2align	8
	.type	_ZN9rocsparseL24bsrsm_upper_large_kernelILj1024ELj16ELb0EdEEviiPKiS2_PKT2_iPS3_iPiS2_S7_21rocsparse_index_base_20rocsparse_diag_type_20rocsparse_direction_,@function
_ZN9rocsparseL24bsrsm_upper_large_kernelILj1024ELj16ELb0EdEEviiPKiS2_PKT2_iPS3_iPiS2_S7_21rocsparse_index_base_20rocsparse_diag_type_20rocsparse_direction_: ; @_ZN9rocsparseL24bsrsm_upper_large_kernelILj1024ELj16ELb0EdEEviiPKiS2_PKT2_iPS3_iPiS2_S7_21rocsparse_index_base_20rocsparse_diag_type_20rocsparse_direction_
; %bb.0:
	s_clause 0x1
	s_load_b64 s[24:25], s[0:1], 0x0
	s_load_b128 s[8:11], s[0:1], 0x8
	s_bfe_u32 s4, ttmp6, 0x4000c
	s_and_b32 s3, ttmp6, 15
	s_add_co_i32 s4, s4, 1
	s_getreg_b32 s5, hwreg(HW_REG_IB_STS2, 6, 4)
	s_mul_i32 s4, ttmp9, s4
	v_dual_lshrrev_b32 v4, 6, v0 :: v_dual_bitop2_b32 v8, 63, v0 bitop3:0x40
	s_add_co_i32 s3, s3, s4
	s_wait_kmcnt 0x0
	s_cvt_f32_u32 s2, s24
	s_sub_co_i32 s6, 0, s24
	s_delay_alu instid0(SALU_CYCLE_2) | instskip(SKIP_1) | instid1(TRANS32_DEP_1)
	v_rcp_iflag_f32_e32 v1, s2
	v_nop
	v_readfirstlane_b32 s2, v1
	s_mul_f32 s2, s2, 0x4f7ffffe
	s_delay_alu instid0(SALU_CYCLE_3) | instskip(NEXT) | instid1(SALU_CYCLE_3)
	s_cvt_u32_f32 s2, s2
	s_mul_i32 s6, s6, s2
	s_delay_alu instid0(SALU_CYCLE_1) | instskip(NEXT) | instid1(SALU_CYCLE_1)
	s_mul_hi_u32 s6, s2, s6
	s_add_co_i32 s2, s2, s6
	s_cmp_eq_u32 s5, 0
	s_load_b128 s[4:7], s[0:1], 0x38
	s_cselect_b32 s3, ttmp9, s3
	s_delay_alu instid0(SALU_CYCLE_1) | instskip(NEXT) | instid1(SALU_CYCLE_1)
	s_mul_hi_u32 s2, s3, s2
	s_mul_i32 s12, s2, s24
	s_add_co_i32 s13, s2, 1
	s_sub_co_i32 s12, s3, s12
	s_delay_alu instid0(SALU_CYCLE_1)
	s_sub_co_i32 s14, s12, s24
	s_cmp_ge_u32 s12, s24
	s_cselect_b32 s2, s13, s2
	s_cselect_b32 s12, s14, s12
	s_add_co_i32 s13, s2, 1
	s_cmp_ge_u32 s12, s24
	s_cselect_b32 s19, s13, s2
	s_delay_alu instid0(SALU_CYCLE_1) | instskip(SKIP_4) | instid1(SALU_CYCLE_1)
	s_mul_i32 s15, s19, s24
	s_lshl_b32 s19, s19, 4
	s_sub_co_i32 s2, s3, s15
	v_or_b32_e32 v1, s19, v4
	s_ashr_i32 s3, s2, 31
	s_lshl_b64 s[12:13], s[2:3], 2
	s_load_b64 s[2:3], s[0:1], 0x48
	s_wait_kmcnt 0x0
	s_add_nc_u64 s[6:7], s[6:7], s[12:13]
	s_load_b96 s[12:14], s[0:1], 0x50
	v_cmp_gt_i32_e32 vcc_lo, s25, v1
	s_load_b32 s6, s[6:7], 0x0
	s_wait_kmcnt 0x0
	s_ashr_i32 s7, s6, 31
	s_delay_alu instid0(SALU_CYCLE_1) | instskip(NEXT) | instid1(SALU_CYCLE_1)
	s_lshl_b64 s[16:17], s[6:7], 2
	s_add_nc_u64 s[8:9], s[8:9], s[16:17]
	s_load_b64 s[26:27], s[8:9], 0x0
	s_clause 0x1
	s_load_b96 s[16:18], s[0:1], 0x18
	s_load_b96 s[20:22], s[0:1], 0x28
	s_wait_xcnt 0x0
	s_not_b32 s0, s12
	s_wait_kmcnt 0x0
	s_add_co_i32 s23, s27, s0
	v_cmp_eq_u32_e64 s0, 0, v0
	s_sub_co_i32 s26, s26, s12
	s_mul_i32 s7, s6, s18
	s_cmp_lt_i32 s23, s26
	s_cbranch_scc1 .LBB30_18
; %bb.1:
	v_mad_u32 v2, s18, s23, v8
	v_cmp_gt_i32_e64 s1, s18, v8
	v_dual_add_nc_u32 v5, s19, v4 :: v_dual_mov_b32 v7, 0
	s_cmp_lg_u32 s14, 0
	s_mul_i32 s28, s22, s18
	s_cselect_b32 s27, -1, 0
	s_and_b32 s1, vcc_lo, s1
	s_mul_i32 s29, s18, s18
	s_lshl_b32 s30, s18, 6
	v_mul_lo_u32 v6, s18, v2
	s_branch .LBB30_3
.LBB30_2:                               ;   in Loop: Header=BB30_3 Depth=1
                                        ; implicit-def: $vgpr6
	s_cbranch_execnz .LBB30_19
.LBB30_3:                               ; =>This Loop Header: Depth=1
                                        ;     Child Loop BB30_7 Depth 2
                                        ;     Child Loop BB30_11 Depth 2
                                        ;       Child Loop BB30_13 Depth 3
	s_wait_xcnt 0x0
	v_mov_b32_e32 v2, s23
	global_load_b32 v2, v2, s[10:11] scale_offset
	s_wait_loadcnt 0x0
	v_readfirstlane_b32 s8, v2
	s_sub_co_i32 s31, s8, s12
	s_delay_alu instid0(SALU_CYCLE_1)
	s_cmp_le_i32 s31, s6
	s_cbranch_scc1 .LBB30_2
; %bb.4:                                ;   in Loop: Header=BB30_3 Depth=1
	s_wait_xcnt 0x0
	s_and_saveexec_b32 s33, s0
	s_cbranch_execz .LBB30_8
; %bb.5:                                ;   in Loop: Header=BB30_3 Depth=1
	s_add_co_i32 s8, s31, s15
	s_delay_alu instid0(SALU_CYCLE_1)
	v_mov_b32_e32 v2, s8
	global_load_b32 v2, v2, s[4:5] scale_offset scope:SCOPE_DEV
	s_wait_loadcnt 0x0
	v_cmp_ne_u32_e32 vcc_lo, 0, v2
	s_cbranch_vccnz .LBB30_8
; %bb.6:                                ;   in Loop: Header=BB30_3 Depth=1
	s_ashr_i32 s9, s8, 31
	s_delay_alu instid0(SALU_CYCLE_1) | instskip(NEXT) | instid1(SALU_CYCLE_1)
	s_lshl_b64 s[8:9], s[8:9], 2
	s_add_nc_u64 s[8:9], s[4:5], s[8:9]
.LBB30_7:                               ;   Parent Loop BB30_3 Depth=1
                                        ; =>  This Inner Loop Header: Depth=2
	global_load_b32 v2, v7, s[8:9] scope:SCOPE_DEV
	s_wait_loadcnt 0x0
	v_cmp_eq_u32_e32 vcc_lo, 0, v2
	s_cbranch_vccnz .LBB30_7
.LBB30_8:                               ;   in Loop: Header=BB30_3 Depth=1
	s_wait_xcnt 0x0
	s_or_b32 exec_lo, exec_lo, s33
	global_wb scope:SCOPE_DEV
	s_wait_storecnt 0x0
	global_inv scope:SCOPE_DEV
	s_wait_loadcnt 0x0
	s_barrier_signal -1
	s_barrier_wait -1
	s_and_saveexec_b32 s8, s1
	s_cbranch_execz .LBB30_17
; %bb.9:                                ;   in Loop: Header=BB30_3 Depth=1
	v_mad_u32 v9, s28, s31, v5
	v_dual_mov_b32 v10, v6 :: v_dual_mov_b32 v11, v8
	s_mul_i32 s9, s23, s18
	s_mov_b32 s33, 0
	s_branch .LBB30_11
.LBB30_10:                              ;   in Loop: Header=BB30_11 Depth=2
	v_dual_add_nc_u32 v12, s7, v11 :: v_dual_add_nc_u32 v11, 64, v11
	v_add_nc_u32_e32 v10, s30, v10
	s_delay_alu instid0(VALU_DEP_2) | instskip(NEXT) | instid1(VALU_DEP_3)
	v_mad_u32 v14, v12, s22, v1
	v_cmp_le_i32_e32 vcc_lo, s18, v11
	s_or_b32 s33, vcc_lo, s33
	global_load_b64 v[12:13], v14, s[20:21] scale_offset
	s_wait_loadcnt 0x0
	v_add_f64_e64 v[2:3], v[12:13], -v[2:3]
	global_store_b64 v14, v[2:3], s[20:21] scale_offset
	s_wait_xcnt 0x0
	s_and_not1_b32 exec_lo, exec_lo, s33
	s_cbranch_execz .LBB30_17
.LBB30_11:                              ;   Parent Loop BB30_3 Depth=1
                                        ; =>  This Loop Header: Depth=2
                                        ;       Child Loop BB30_13 Depth 3
	v_mov_b64_e32 v[2:3], 0
	s_delay_alu instid0(VALU_DEP_3)
	v_mov_b32_e32 v12, v9
	s_mov_b32 s34, 0
	s_branch .LBB30_13
.LBB30_12:                              ;   in Loop: Header=BB30_13 Depth=3
	global_load_b64 v[14:15], v13, s[16:17] scale_offset
	global_load_b64 v[16:17], v12, s[20:21] scale_offset
	s_wait_xcnt 0x0
	v_add_nc_u32_e32 v12, s22, v12
	s_add_co_i32 s34, s34, 1
	s_delay_alu instid0(SALU_CYCLE_1)
	s_cmp_eq_u32 s18, s34
	s_wait_loadcnt 0x0
	v_fmac_f64_e32 v[2:3], v[14:15], v[16:17]
	s_cbranch_scc1 .LBB30_10
.LBB30_13:                              ;   Parent Loop BB30_3 Depth=1
                                        ;     Parent Loop BB30_11 Depth=2
                                        ; =>    This Inner Loop Header: Depth=3
	s_and_b32 vcc_lo, exec_lo, s27
	s_cbranch_vccz .LBB30_15
; %bb.14:                               ;   in Loop: Header=BB30_13 Depth=3
	s_add_co_i32 s35, s34, s9
	s_delay_alu instid0(SALU_CYCLE_1)
	v_mad_u32 v13, s35, s18, v11
	s_cbranch_execnz .LBB30_12
	s_branch .LBB30_16
.LBB30_15:                              ;   in Loop: Header=BB30_13 Depth=3
                                        ; implicit-def: $vgpr13
.LBB30_16:                              ;   in Loop: Header=BB30_13 Depth=3
	v_add_nc_u32_e32 v13, s34, v10
	s_branch .LBB30_12
.LBB30_17:                              ;   in Loop: Header=BB30_3 Depth=1
	s_or_b32 exec_lo, exec_lo, s8
	s_add_co_i32 s9, s23, -1
	s_cmp_le_i32 s23, s26
	v_subrev_nc_u32_e32 v6, s29, v6
	s_cselect_b32 s8, -1, 0
	s_mov_b32 s23, s9
	s_and_b32 vcc_lo, exec_lo, s8
	s_cbranch_vccz .LBB30_3
	s_branch .LBB30_19
.LBB30_18:
	s_mov_b32 s31, s24
.LBB30_19:
	s_cmp_lt_i32 s6, s24
	v_cmp_gt_i32_e32 vcc_lo, s25, v1
	s_cselect_b32 s0, -1, 0
	s_cmp_eq_u32 s6, s31
	s_mov_b32 s8, 0
	s_cselect_b32 s1, -1, 0
	s_delay_alu instid0(SALU_CYCLE_1) | instskip(NEXT) | instid1(SALU_CYCLE_1)
	s_and_b32 s1, s0, s1
	s_and_b32 s1, s1, vcc_lo
	s_cmp_gt_i32 s18, 0
	s_cselect_b32 s9, -1, 0
	s_delay_alu instid0(SALU_CYCLE_1)
	s_and_b32 s9, s1, s9
	s_wait_xcnt 0x0
	s_and_saveexec_b32 s1, s9
	s_cbranch_execz .LBB30_35
; %bb.20:
	v_add_nc_u32_e32 v2, s7, v8
	s_cmp_eq_u32 s13, 0
	s_mov_b32 s10, 0
	s_cselect_b32 s8, -1, 0
	s_cmp_lg_u32 s14, 0
	v_mul_lo_u32 v2, s22, v2
	s_cselect_b32 s9, -1, 0
	s_add_co_i32 s11, s23, 1
	s_delay_alu instid0(SALU_CYCLE_1) | instskip(SKIP_4) | instid1(VALU_DEP_1)
	s_mul_i32 s13, s18, s11
	s_mul_i32 s11, s23, s18
	s_add_co_i32 s14, s13, -1
	s_lshl_b32 s13, s22, 6
	s_mul_i32 s14, s18, s14
	v_add3_u32 v9, v4, v2, s19
	s_mov_b32 s19, s18
	v_mov_b64_e32 v[4:5], 1.0
	s_and_not1_b32 vcc_lo, exec_lo, s8
	s_add_co_i32 s23, s19, -1
	s_cbranch_vccnz .LBB30_22
.LBB30_21:
	s_add_co_i32 s24, s23, s11
	s_delay_alu instid0(SALU_CYCLE_1) | instskip(NEXT) | instid1(SALU_CYCLE_1)
	s_mul_i32 s24, s24, s18
	s_add_co_i32 s24, s24, s23
	s_wait_loadcnt 0x0
	v_mov_b32_e32 v2, s24
	global_load_b64 v[4:5], v2, s[16:17] scale_offset
.LBB30_22:                              ; =>This Loop Header: Depth=1
                                        ;     Child Loop BB30_27 Depth 2
	s_add_co_i32 s24, s23, s7
	s_wait_loadcnt 0x0
	s_delay_alu instid0(VALU_DEP_1)
	v_cmp_eq_f64_e32 vcc_lo, 0, v[4:5]
	v_mad_u32 v6, s24, s22, v1
	global_load_b64 v[2:3], v6, s[20:21] scale_offset
	s_cbranch_vccnz .LBB30_24
; %bb.23:                               ;   in Loop: Header=BB30_22 Depth=1
	s_wait_loadcnt 0x0
	v_div_scale_f64 v[10:11], null, v[4:5], v[4:5], v[2:3]
	v_ashrrev_i32_e32 v7, 31, v6
	s_delay_alu instid0(VALU_DEP_2) | instskip(SKIP_1) | instid1(TRANS32_DEP_1)
	v_rcp_f64_e32 v[12:13], v[10:11]
	v_nop
	v_fma_f64 v[14:15], -v[10:11], v[12:13], 1.0
	s_delay_alu instid0(VALU_DEP_1) | instskip(NEXT) | instid1(VALU_DEP_1)
	v_fmac_f64_e32 v[12:13], v[12:13], v[14:15]
	v_fma_f64 v[14:15], -v[10:11], v[12:13], 1.0
	s_delay_alu instid0(VALU_DEP_1) | instskip(SKIP_1) | instid1(VALU_DEP_1)
	v_fmac_f64_e32 v[12:13], v[12:13], v[14:15]
	v_div_scale_f64 v[14:15], vcc_lo, v[2:3], v[4:5], v[2:3]
	v_mul_f64_e32 v[16:17], v[14:15], v[12:13]
	s_delay_alu instid0(VALU_DEP_1) | instskip(NEXT) | instid1(VALU_DEP_1)
	v_fma_f64 v[10:11], -v[10:11], v[16:17], v[14:15]
	v_div_fmas_f64 v[10:11], v[10:11], v[12:13], v[16:17]
	s_delay_alu instid0(VALU_DEP_1)
	v_div_fixup_f64 v[2:3], v[10:11], v[4:5], v[2:3]
	v_lshl_add_u64 v[4:5], v[6:7], 3, s[20:21]
	global_store_b64 v[4:5], v[2:3], off
	s_mov_b32 s24, exec_lo
	s_wait_xcnt 0x0
	v_cmpx_gt_i32_e64 s23, v8
	s_cbranch_execnz .LBB30_25
	s_branch .LBB30_31
.LBB30_24:                              ;   in Loop: Header=BB30_22 Depth=1
	s_mov_b32 s10, -1
	s_mov_b32 s24, exec_lo
	s_wait_xcnt 0x0
	v_cmpx_gt_i32_e64 s23, v8
	s_cbranch_execz .LBB30_31
.LBB30_25:                              ;   in Loop: Header=BB30_22 Depth=1
	v_dual_mov_b32 v4, v9 :: v_dual_mov_b32 v5, v8
	s_mov_b32 s25, 0
	s_branch .LBB30_27
.LBB30_26:                              ;   in Loop: Header=BB30_27 Depth=2
	global_load_b64 v[10:11], v6, s[16:17] scale_offset
	global_load_b64 v[12:13], v4, s[20:21] scale_offset
	v_add_nc_u32_e32 v5, 64, v5
	s_delay_alu instid0(VALU_DEP_1)
	v_cmp_le_i32_e32 vcc_lo, s23, v5
	s_or_b32 s25, vcc_lo, s25
	s_wait_loadcnt 0x0
	s_wait_xcnt 0x1
	v_fma_f64 v[6:7], -v[2:3], v[10:11], v[12:13]
	global_store_b64 v4, v[6:7], s[20:21] scale_offset
	s_wait_xcnt 0x0
	v_add_nc_u32_e32 v4, s13, v4
	s_and_not1_b32 exec_lo, exec_lo, s25
	s_cbranch_execz .LBB30_31
.LBB30_27:                              ;   Parent Loop BB30_22 Depth=1
                                        ; =>  This Inner Loop Header: Depth=2
	s_and_b32 vcc_lo, exec_lo, s9
	s_cbranch_vccz .LBB30_29
; %bb.28:                               ;   in Loop: Header=BB30_27 Depth=2
	v_add_nc_u32_e32 v6, s14, v5
	s_cbranch_execnz .LBB30_26
	s_branch .LBB30_30
.LBB30_29:                              ;   in Loop: Header=BB30_27 Depth=2
                                        ; implicit-def: $vgpr6
.LBB30_30:                              ;   in Loop: Header=BB30_27 Depth=2
	v_add_nc_u32_e32 v6, s11, v5
	s_delay_alu instid0(VALU_DEP_1)
	v_mad_u32 v6, v6, s18, s23
	s_branch .LBB30_26
.LBB30_31:                              ;   in Loop: Header=BB30_22 Depth=1
	s_or_b32 exec_lo, exec_lo, s24
; %bb.32:                               ;   in Loop: Header=BB30_22 Depth=1
	s_sub_co_i32 s14, s14, s18
	s_cmp_lt_i32 s19, 2
	s_cbranch_scc1 .LBB30_34
; %bb.33:                               ;   in Loop: Header=BB30_22 Depth=1
	s_mov_b32 s19, s23
	v_mov_b64_e32 v[4:5], 1.0
	s_and_not1_b32 vcc_lo, exec_lo, s8
	s_add_co_i32 s23, s19, -1
	s_cbranch_vccnz .LBB30_22
	s_branch .LBB30_21
.LBB30_34:
	s_and_b32 s8, s10, exec_lo
.LBB30_35:
	s_or_b32 exec_lo, exec_lo, s1
	v_cmp_eq_u32_e32 vcc_lo, 0, v0
	global_wb scope:SCOPE_DEV
	s_wait_loadcnt 0x0
	s_wait_storecnt 0x0
	global_inv scope:SCOPE_DEV
	s_wait_loadcnt 0x0
	s_barrier_signal -1
	s_barrier_wait -1
	s_and_b32 s0, vcc_lo, s0
	s_delay_alu instid0(SALU_CYCLE_1)
	s_and_saveexec_b32 s1, s0
	s_cbranch_execz .LBB30_39
; %bb.36:
	s_add_co_i32 s0, s6, s15
	s_delay_alu instid0(SALU_CYCLE_1)
	v_dual_mov_b32 v0, 1 :: v_dual_mov_b32 v1, s0
	global_store_b32 v1, v0, s[4:5] scale_offset scope:SCOPE_DEV
	s_wait_xcnt 0x0
	s_and_b32 exec_lo, exec_lo, s8
	s_cbranch_execz .LBB30_39
; %bb.37:
	v_mbcnt_lo_u32_b32 v0, exec_lo, 0
	s_delay_alu instid0(VALU_DEP_1)
	v_cmp_eq_u32_e32 vcc_lo, 0, v0
	s_and_b32 exec_lo, exec_lo, vcc_lo
	s_cbranch_execz .LBB30_39
; %bb.38:
	s_add_co_i32 s0, s6, s12
	s_delay_alu instid0(SALU_CYCLE_1)
	v_dual_mov_b32 v0, 0 :: v_dual_mov_b32 v1, s0
	global_atomic_min_i32 v0, v1, s[2:3] scope:SCOPE_DEV
.LBB30_39:
	s_endpgm
	.section	.rodata,"a",@progbits
	.p2align	6, 0x0
	.amdhsa_kernel _ZN9rocsparseL24bsrsm_upper_large_kernelILj1024ELj16ELb0EdEEviiPKiS2_PKT2_iPS3_iPiS2_S7_21rocsparse_index_base_20rocsparse_diag_type_20rocsparse_direction_
		.amdhsa_group_segment_fixed_size 0
		.amdhsa_private_segment_fixed_size 0
		.amdhsa_kernarg_size 92
		.amdhsa_user_sgpr_count 2
		.amdhsa_user_sgpr_dispatch_ptr 0
		.amdhsa_user_sgpr_queue_ptr 0
		.amdhsa_user_sgpr_kernarg_segment_ptr 1
		.amdhsa_user_sgpr_dispatch_id 0
		.amdhsa_user_sgpr_kernarg_preload_length 0
		.amdhsa_user_sgpr_kernarg_preload_offset 0
		.amdhsa_user_sgpr_private_segment_size 0
		.amdhsa_wavefront_size32 1
		.amdhsa_uses_dynamic_stack 0
		.amdhsa_enable_private_segment 0
		.amdhsa_system_sgpr_workgroup_id_x 1
		.amdhsa_system_sgpr_workgroup_id_y 0
		.amdhsa_system_sgpr_workgroup_id_z 0
		.amdhsa_system_sgpr_workgroup_info 0
		.amdhsa_system_vgpr_workitem_id 0
		.amdhsa_next_free_vgpr 18
		.amdhsa_next_free_sgpr 36
		.amdhsa_named_barrier_count 0
		.amdhsa_reserve_vcc 1
		.amdhsa_float_round_mode_32 0
		.amdhsa_float_round_mode_16_64 0
		.amdhsa_float_denorm_mode_32 3
		.amdhsa_float_denorm_mode_16_64 3
		.amdhsa_fp16_overflow 0
		.amdhsa_memory_ordered 1
		.amdhsa_forward_progress 1
		.amdhsa_inst_pref_size 13
		.amdhsa_round_robin_scheduling 0
		.amdhsa_exception_fp_ieee_invalid_op 0
		.amdhsa_exception_fp_denorm_src 0
		.amdhsa_exception_fp_ieee_div_zero 0
		.amdhsa_exception_fp_ieee_overflow 0
		.amdhsa_exception_fp_ieee_underflow 0
		.amdhsa_exception_fp_ieee_inexact 0
		.amdhsa_exception_int_div_zero 0
	.end_amdhsa_kernel
	.section	.text._ZN9rocsparseL24bsrsm_upper_large_kernelILj1024ELj16ELb0EdEEviiPKiS2_PKT2_iPS3_iPiS2_S7_21rocsparse_index_base_20rocsparse_diag_type_20rocsparse_direction_,"axG",@progbits,_ZN9rocsparseL24bsrsm_upper_large_kernelILj1024ELj16ELb0EdEEviiPKiS2_PKT2_iPS3_iPiS2_S7_21rocsparse_index_base_20rocsparse_diag_type_20rocsparse_direction_,comdat
.Lfunc_end30:
	.size	_ZN9rocsparseL24bsrsm_upper_large_kernelILj1024ELj16ELb0EdEEviiPKiS2_PKT2_iPS3_iPiS2_S7_21rocsparse_index_base_20rocsparse_diag_type_20rocsparse_direction_, .Lfunc_end30-_ZN9rocsparseL24bsrsm_upper_large_kernelILj1024ELj16ELb0EdEEviiPKiS2_PKT2_iPS3_iPiS2_S7_21rocsparse_index_base_20rocsparse_diag_type_20rocsparse_direction_
                                        ; -- End function
	.set _ZN9rocsparseL24bsrsm_upper_large_kernelILj1024ELj16ELb0EdEEviiPKiS2_PKT2_iPS3_iPiS2_S7_21rocsparse_index_base_20rocsparse_diag_type_20rocsparse_direction_.num_vgpr, 18
	.set _ZN9rocsparseL24bsrsm_upper_large_kernelILj1024ELj16ELb0EdEEviiPKiS2_PKT2_iPS3_iPiS2_S7_21rocsparse_index_base_20rocsparse_diag_type_20rocsparse_direction_.num_agpr, 0
	.set _ZN9rocsparseL24bsrsm_upper_large_kernelILj1024ELj16ELb0EdEEviiPKiS2_PKT2_iPS3_iPiS2_S7_21rocsparse_index_base_20rocsparse_diag_type_20rocsparse_direction_.numbered_sgpr, 36
	.set _ZN9rocsparseL24bsrsm_upper_large_kernelILj1024ELj16ELb0EdEEviiPKiS2_PKT2_iPS3_iPiS2_S7_21rocsparse_index_base_20rocsparse_diag_type_20rocsparse_direction_.num_named_barrier, 0
	.set _ZN9rocsparseL24bsrsm_upper_large_kernelILj1024ELj16ELb0EdEEviiPKiS2_PKT2_iPS3_iPiS2_S7_21rocsparse_index_base_20rocsparse_diag_type_20rocsparse_direction_.private_seg_size, 0
	.set _ZN9rocsparseL24bsrsm_upper_large_kernelILj1024ELj16ELb0EdEEviiPKiS2_PKT2_iPS3_iPiS2_S7_21rocsparse_index_base_20rocsparse_diag_type_20rocsparse_direction_.uses_vcc, 1
	.set _ZN9rocsparseL24bsrsm_upper_large_kernelILj1024ELj16ELb0EdEEviiPKiS2_PKT2_iPS3_iPiS2_S7_21rocsparse_index_base_20rocsparse_diag_type_20rocsparse_direction_.uses_flat_scratch, 0
	.set _ZN9rocsparseL24bsrsm_upper_large_kernelILj1024ELj16ELb0EdEEviiPKiS2_PKT2_iPS3_iPiS2_S7_21rocsparse_index_base_20rocsparse_diag_type_20rocsparse_direction_.has_dyn_sized_stack, 0
	.set _ZN9rocsparseL24bsrsm_upper_large_kernelILj1024ELj16ELb0EdEEviiPKiS2_PKT2_iPS3_iPiS2_S7_21rocsparse_index_base_20rocsparse_diag_type_20rocsparse_direction_.has_recursion, 0
	.set _ZN9rocsparseL24bsrsm_upper_large_kernelILj1024ELj16ELb0EdEEviiPKiS2_PKT2_iPS3_iPiS2_S7_21rocsparse_index_base_20rocsparse_diag_type_20rocsparse_direction_.has_indirect_call, 0
	.section	.AMDGPU.csdata,"",@progbits
; Kernel info:
; codeLenInByte = 1612
; TotalNumSgprs: 38
; NumVgprs: 18
; ScratchSize: 0
; MemoryBound: 0
; FloatMode: 240
; IeeeMode: 1
; LDSByteSize: 0 bytes/workgroup (compile time only)
; SGPRBlocks: 0
; VGPRBlocks: 1
; NumSGPRsForWavesPerEU: 38
; NumVGPRsForWavesPerEU: 18
; NamedBarCnt: 0
; Occupancy: 16
; WaveLimiterHint : 1
; COMPUTE_PGM_RSRC2:SCRATCH_EN: 0
; COMPUTE_PGM_RSRC2:USER_SGPR: 2
; COMPUTE_PGM_RSRC2:TRAP_HANDLER: 0
; COMPUTE_PGM_RSRC2:TGID_X_EN: 1
; COMPUTE_PGM_RSRC2:TGID_Y_EN: 0
; COMPUTE_PGM_RSRC2:TGID_Z_EN: 0
; COMPUTE_PGM_RSRC2:TIDIG_COMP_CNT: 0
	.section	.text._ZN9rocsparseL24bsrsm_lower_large_kernelILj1024ELj16ELb0EdEEviiPKiS2_PKT2_iPS3_iPiS2_S7_21rocsparse_index_base_20rocsparse_diag_type_20rocsparse_direction_,"axG",@progbits,_ZN9rocsparseL24bsrsm_lower_large_kernelILj1024ELj16ELb0EdEEviiPKiS2_PKT2_iPS3_iPiS2_S7_21rocsparse_index_base_20rocsparse_diag_type_20rocsparse_direction_,comdat
	.globl	_ZN9rocsparseL24bsrsm_lower_large_kernelILj1024ELj16ELb0EdEEviiPKiS2_PKT2_iPS3_iPiS2_S7_21rocsparse_index_base_20rocsparse_diag_type_20rocsparse_direction_ ; -- Begin function _ZN9rocsparseL24bsrsm_lower_large_kernelILj1024ELj16ELb0EdEEviiPKiS2_PKT2_iPS3_iPiS2_S7_21rocsparse_index_base_20rocsparse_diag_type_20rocsparse_direction_
	.p2align	8
	.type	_ZN9rocsparseL24bsrsm_lower_large_kernelILj1024ELj16ELb0EdEEviiPKiS2_PKT2_iPS3_iPiS2_S7_21rocsparse_index_base_20rocsparse_diag_type_20rocsparse_direction_,@function
_ZN9rocsparseL24bsrsm_lower_large_kernelILj1024ELj16ELb0EdEEviiPKiS2_PKT2_iPS3_iPiS2_S7_21rocsparse_index_base_20rocsparse_diag_type_20rocsparse_direction_: ; @_ZN9rocsparseL24bsrsm_lower_large_kernelILj1024ELj16ELb0EdEEviiPKiS2_PKT2_iPS3_iPiS2_S7_21rocsparse_index_base_20rocsparse_diag_type_20rocsparse_direction_
; %bb.0:
	s_clause 0x1
	s_load_b64 s[24:25], s[0:1], 0x0
	s_load_b128 s[8:11], s[0:1], 0x8
	s_bfe_u32 s4, ttmp6, 0x4000c
	s_and_b32 s3, ttmp6, 15
	s_add_co_i32 s4, s4, 1
	s_getreg_b32 s5, hwreg(HW_REG_IB_STS2, 6, 4)
	s_mul_i32 s4, ttmp9, s4
	v_dual_lshrrev_b32 v4, 6, v0 :: v_dual_bitop2_b32 v5, 63, v0 bitop3:0x40
	s_add_co_i32 s3, s3, s4
	s_wait_kmcnt 0x0
	s_cvt_f32_u32 s2, s24
	s_sub_co_i32 s6, 0, s24
	s_delay_alu instid0(SALU_CYCLE_2) | instskip(SKIP_1) | instid1(TRANS32_DEP_1)
	v_rcp_iflag_f32_e32 v1, s2
	v_nop
	v_readfirstlane_b32 s2, v1
	s_mul_f32 s2, s2, 0x4f7ffffe
	s_delay_alu instid0(SALU_CYCLE_3) | instskip(NEXT) | instid1(SALU_CYCLE_3)
	s_cvt_u32_f32 s2, s2
	s_mul_i32 s6, s6, s2
	s_delay_alu instid0(SALU_CYCLE_1) | instskip(NEXT) | instid1(SALU_CYCLE_1)
	s_mul_hi_u32 s6, s2, s6
	s_add_co_i32 s2, s2, s6
	s_cmp_eq_u32 s5, 0
	s_load_b128 s[4:7], s[0:1], 0x38
	s_cselect_b32 s3, ttmp9, s3
	s_delay_alu instid0(SALU_CYCLE_1) | instskip(NEXT) | instid1(SALU_CYCLE_1)
	s_mul_hi_u32 s2, s3, s2
	s_mul_i32 s12, s2, s24
	s_add_co_i32 s13, s2, 1
	s_sub_co_i32 s12, s3, s12
	s_delay_alu instid0(SALU_CYCLE_1)
	s_sub_co_i32 s14, s12, s24
	s_cmp_ge_u32 s12, s24
	s_cselect_b32 s2, s13, s2
	s_cselect_b32 s12, s14, s12
	s_add_co_i32 s13, s2, 1
	s_cmp_ge_u32 s12, s24
	s_cselect_b32 s19, s13, s2
	s_delay_alu instid0(SALU_CYCLE_1) | instskip(SKIP_4) | instid1(SALU_CYCLE_1)
	s_mul_i32 s15, s19, s24
	s_lshl_b32 s19, s19, 4
	s_sub_co_i32 s2, s3, s15
	v_or_b32_e32 v1, s19, v4
	s_ashr_i32 s3, s2, 31
	s_lshl_b64 s[12:13], s[2:3], 2
	s_load_b64 s[2:3], s[0:1], 0x48
	s_wait_kmcnt 0x0
	s_add_nc_u64 s[6:7], s[6:7], s[12:13]
	v_cmp_gt_i32_e32 vcc_lo, s25, v1
	s_load_b32 s6, s[6:7], 0x0
	s_wait_kmcnt 0x0
	s_ashr_i32 s7, s6, 31
	s_delay_alu instid0(SALU_CYCLE_1) | instskip(NEXT) | instid1(SALU_CYCLE_1)
	s_lshl_b64 s[12:13], s[6:7], 2
	s_add_nc_u64 s[26:27], s[8:9], s[12:13]
	s_load_b96 s[12:14], s[0:1], 0x50
	s_load_b64 s[8:9], s[26:27], 0x0
	s_clause 0x1
	s_load_b96 s[16:18], s[0:1], 0x18
	s_load_b96 s[20:22], s[0:1], 0x28
	s_wait_xcnt 0x0
	v_cmp_eq_u32_e64 s0, 0, v0
	s_wait_kmcnt 0x0
	s_sub_co_i32 s23, s8, s12
	s_cmp_ge_i32 s8, s9
	s_mul_i32 s7, s6, s18
	s_mul_i32 s26, s18, s18
	s_cbranch_scc1 .LBB31_18
; %bb.1:
	v_mad_u32 v2, s18, s23, v5
	v_cmp_gt_i32_e64 s1, s18, v5
	s_sub_co_i32 s27, s9, s12
	v_dual_mov_b32 v8, 0 :: v_dual_add_nc_u32 v7, s19, v4
	s_cmp_lg_u32 s14, 0
	s_mul_i32 s29, s22, s18
	s_cselect_b32 s28, -1, 0
	s_and_b32 s1, vcc_lo, s1
	s_lshl_b32 s30, s18, 6
	v_mul_lo_u32 v6, s18, v2
	s_branch .LBB31_3
.LBB31_2:                               ;   in Loop: Header=BB31_3 Depth=1
                                        ; implicit-def: $vgpr6
	s_and_b32 vcc_lo, exec_lo, s8
	s_cbranch_vccnz .LBB31_19
.LBB31_3:                               ; =>This Loop Header: Depth=1
                                        ;     Child Loop BB31_7 Depth 2
                                        ;     Child Loop BB31_11 Depth 2
                                        ;       Child Loop BB31_13 Depth 3
	s_wait_xcnt 0x0
	v_mov_b32_e32 v2, s23
	global_load_b32 v2, v2, s[10:11] scale_offset
	s_wait_loadcnt 0x0
	v_readfirstlane_b32 s8, v2
	s_sub_co_i32 s31, s8, s12
	s_mov_b32 s8, -1
	s_cmp_ge_i32 s31, s6
	s_cbranch_scc1 .LBB31_2
; %bb.4:                                ;   in Loop: Header=BB31_3 Depth=1
	s_wait_xcnt 0x0
	s_and_saveexec_b32 s33, s0
	s_cbranch_execz .LBB31_8
; %bb.5:                                ;   in Loop: Header=BB31_3 Depth=1
	s_add_co_i32 s8, s31, s15
	s_delay_alu instid0(SALU_CYCLE_1)
	v_mov_b32_e32 v2, s8
	global_load_b32 v2, v2, s[4:5] scale_offset scope:SCOPE_DEV
	s_wait_loadcnt 0x0
	v_cmp_ne_u32_e32 vcc_lo, 0, v2
	s_cbranch_vccnz .LBB31_8
; %bb.6:                                ;   in Loop: Header=BB31_3 Depth=1
	s_ashr_i32 s9, s8, 31
	s_delay_alu instid0(SALU_CYCLE_1) | instskip(NEXT) | instid1(SALU_CYCLE_1)
	s_lshl_b64 s[8:9], s[8:9], 2
	s_add_nc_u64 s[8:9], s[4:5], s[8:9]
.LBB31_7:                               ;   Parent Loop BB31_3 Depth=1
                                        ; =>  This Inner Loop Header: Depth=2
	global_load_b32 v2, v8, s[8:9] scope:SCOPE_DEV
	s_wait_loadcnt 0x0
	v_cmp_eq_u32_e32 vcc_lo, 0, v2
	s_cbranch_vccnz .LBB31_7
.LBB31_8:                               ;   in Loop: Header=BB31_3 Depth=1
	s_wait_xcnt 0x0
	s_or_b32 exec_lo, exec_lo, s33
	global_wb scope:SCOPE_DEV
	s_wait_storecnt 0x0
	global_inv scope:SCOPE_DEV
	s_wait_loadcnt 0x0
	s_barrier_signal -1
	s_barrier_wait -1
	s_and_saveexec_b32 s8, s1
	s_cbranch_execz .LBB31_17
; %bb.9:                                ;   in Loop: Header=BB31_3 Depth=1
	v_mad_u32 v9, s29, s31, v7
	v_dual_mov_b32 v10, v6 :: v_dual_mov_b32 v11, v5
	s_mul_i32 s9, s23, s18
	s_mov_b32 s33, 0
	s_branch .LBB31_11
.LBB31_10:                              ;   in Loop: Header=BB31_11 Depth=2
	v_dual_add_nc_u32 v12, s7, v11 :: v_dual_add_nc_u32 v11, 64, v11
	v_add_nc_u32_e32 v10, s30, v10
	s_delay_alu instid0(VALU_DEP_2) | instskip(NEXT) | instid1(VALU_DEP_3)
	v_mad_u32 v14, v12, s22, v1
	v_cmp_le_i32_e32 vcc_lo, s18, v11
	s_or_b32 s33, vcc_lo, s33
	global_load_b64 v[12:13], v14, s[20:21] scale_offset
	s_wait_loadcnt 0x0
	v_add_f64_e64 v[2:3], v[12:13], -v[2:3]
	global_store_b64 v14, v[2:3], s[20:21] scale_offset
	s_wait_xcnt 0x0
	s_and_not1_b32 exec_lo, exec_lo, s33
	s_cbranch_execz .LBB31_17
.LBB31_11:                              ;   Parent Loop BB31_3 Depth=1
                                        ; =>  This Loop Header: Depth=2
                                        ;       Child Loop BB31_13 Depth 3
	v_mov_b64_e32 v[2:3], 0
	s_delay_alu instid0(VALU_DEP_3)
	v_mov_b32_e32 v12, v9
	s_mov_b32 s34, 0
	s_branch .LBB31_13
.LBB31_12:                              ;   in Loop: Header=BB31_13 Depth=3
	global_load_b64 v[14:15], v13, s[16:17] scale_offset
	global_load_b64 v[16:17], v12, s[20:21] scale_offset
	s_wait_xcnt 0x0
	v_add_nc_u32_e32 v12, s22, v12
	s_add_co_i32 s34, s34, 1
	s_delay_alu instid0(SALU_CYCLE_1)
	s_cmp_eq_u32 s18, s34
	s_wait_loadcnt 0x0
	v_fmac_f64_e32 v[2:3], v[14:15], v[16:17]
	s_cbranch_scc1 .LBB31_10
.LBB31_13:                              ;   Parent Loop BB31_3 Depth=1
                                        ;     Parent Loop BB31_11 Depth=2
                                        ; =>    This Inner Loop Header: Depth=3
	s_and_b32 vcc_lo, exec_lo, s28
	s_cbranch_vccz .LBB31_15
; %bb.14:                               ;   in Loop: Header=BB31_13 Depth=3
	s_add_co_i32 s35, s34, s9
	s_delay_alu instid0(SALU_CYCLE_1)
	v_mad_u32 v13, s35, s18, v11
	s_cbranch_execnz .LBB31_12
	s_branch .LBB31_16
.LBB31_15:                              ;   in Loop: Header=BB31_13 Depth=3
                                        ; implicit-def: $vgpr13
.LBB31_16:                              ;   in Loop: Header=BB31_13 Depth=3
	v_add_nc_u32_e32 v13, s34, v10
	s_branch .LBB31_12
.LBB31_17:                              ;   in Loop: Header=BB31_3 Depth=1
	s_or_b32 exec_lo, exec_lo, s8
	s_add_co_i32 s23, s23, 1
	v_add_nc_u32_e32 v6, s26, v6
	s_cmp_ge_i32 s23, s27
	s_cselect_b32 s8, -1, 0
	s_delay_alu instid0(SALU_CYCLE_1)
	s_and_b32 vcc_lo, exec_lo, s8
	s_cbranch_vccz .LBB31_3
	s_branch .LBB31_19
.LBB31_18:
	s_mov_b32 s31, s24
.LBB31_19:
	s_cmp_lt_i32 s6, s24
	v_cmp_gt_i32_e32 vcc_lo, s25, v1
	s_cselect_b32 s0, -1, 0
	s_cmp_eq_u32 s6, s31
	s_mov_b32 s8, 0
	s_cselect_b32 s1, -1, 0
	s_delay_alu instid0(SALU_CYCLE_1) | instskip(NEXT) | instid1(SALU_CYCLE_1)
	s_and_b32 s1, s0, s1
	s_and_b32 s1, s1, vcc_lo
	s_cmp_gt_i32 s18, 0
	s_cselect_b32 s9, -1, 0
	s_delay_alu instid0(SALU_CYCLE_1)
	s_and_b32 s9, s1, s9
	s_wait_xcnt 0x0
	s_and_saveexec_b32 s1, s9
	s_cbranch_execz .LBB31_34
; %bb.20:
	v_dual_add_nc_u32 v2, s7, v5 :: v_dual_add_nc_u32 v8, 1, v5
	s_cmp_eq_u32 s13, 0
	s_mul_i32 s10, s23, s18
	s_cselect_b32 s9, -1, 0
	s_delay_alu instid0(VALU_DEP_1)
	v_mad_u32 v2, s22, v2, s22
	s_cmp_lg_u32 s14, 0
	s_mul_i32 s14, s23, s26
	s_cselect_b32 s11, -1, 0
	s_lshl_b32 s13, s22, 6
	s_mov_b32 s23, 0
	s_delay_alu instid0(VALU_DEP_1)
	v_add3_u32 v9, v4, v2, s19
	s_add_co_i32 s19, s18, 1
	s_branch .LBB31_22
.LBB31_21:                              ;   in Loop: Header=BB31_22 Depth=1
	s_or_b32 exec_lo, exec_lo, s24
	v_add_nc_u32_e32 v9, s22, v9
	s_add_co_i32 s8, s8, 1
	s_add_co_i32 s14, s14, s19
	s_cmp_eq_u32 s8, s18
	s_cbranch_scc1 .LBB31_33
.LBB31_22:                              ; =>This Loop Header: Depth=1
                                        ;     Child Loop BB31_29 Depth 2
	v_mov_b64_e32 v[4:5], 1.0
	s_and_not1_b32 vcc_lo, exec_lo, s9
	s_cbranch_vccnz .LBB31_24
; %bb.23:                               ;   in Loop: Header=BB31_22 Depth=1
	s_add_co_i32 s24, s8, s10
	s_delay_alu instid0(SALU_CYCLE_1) | instskip(NEXT) | instid1(SALU_CYCLE_1)
	s_mul_i32 s24, s24, s18
	s_add_co_i32 s24, s24, s8
	s_wait_loadcnt 0x0
	v_mov_b32_e32 v2, s24
	global_load_b64 v[4:5], v2, s[16:17] scale_offset
.LBB31_24:                              ;   in Loop: Header=BB31_22 Depth=1
	s_add_co_i32 s24, s8, s7
	s_wait_loadcnt 0x0
	s_delay_alu instid0(VALU_DEP_1)
	v_cmp_eq_f64_e32 vcc_lo, 0, v[4:5]
	v_mad_u32 v6, s24, s22, v1
	global_load_b64 v[2:3], v6, s[20:21] scale_offset
	s_cbranch_vccnz .LBB31_26
; %bb.25:                               ;   in Loop: Header=BB31_22 Depth=1
	s_wait_loadcnt 0x0
	v_div_scale_f64 v[10:11], null, v[4:5], v[4:5], v[2:3]
	v_ashrrev_i32_e32 v7, 31, v6
	s_delay_alu instid0(VALU_DEP_2) | instskip(SKIP_1) | instid1(TRANS32_DEP_1)
	v_rcp_f64_e32 v[12:13], v[10:11]
	v_nop
	v_fma_f64 v[14:15], -v[10:11], v[12:13], 1.0
	s_delay_alu instid0(VALU_DEP_1) | instskip(NEXT) | instid1(VALU_DEP_1)
	v_fmac_f64_e32 v[12:13], v[12:13], v[14:15]
	v_fma_f64 v[14:15], -v[10:11], v[12:13], 1.0
	s_delay_alu instid0(VALU_DEP_1) | instskip(SKIP_1) | instid1(VALU_DEP_1)
	v_fmac_f64_e32 v[12:13], v[12:13], v[14:15]
	v_div_scale_f64 v[14:15], vcc_lo, v[2:3], v[4:5], v[2:3]
	v_mul_f64_e32 v[16:17], v[14:15], v[12:13]
	s_delay_alu instid0(VALU_DEP_1) | instskip(NEXT) | instid1(VALU_DEP_1)
	v_fma_f64 v[10:11], -v[10:11], v[16:17], v[14:15]
	v_div_fmas_f64 v[10:11], v[10:11], v[12:13], v[16:17]
	s_delay_alu instid0(VALU_DEP_1)
	v_div_fixup_f64 v[2:3], v[10:11], v[4:5], v[2:3]
	v_lshl_add_u64 v[4:5], v[6:7], 3, s[20:21]
	global_store_b64 v[4:5], v[2:3], off
	s_wait_xcnt 0x0
	v_add_nc_u32_e32 v4, s8, v8
	s_mov_b32 s24, exec_lo
	s_delay_alu instid0(VALU_DEP_1)
	v_cmpx_gt_i32_e64 s18, v4
	s_cbranch_execz .LBB31_21
	s_branch .LBB31_27
.LBB31_26:                              ;   in Loop: Header=BB31_22 Depth=1
	s_mov_b32 s23, -1
	v_add_nc_u32_e32 v4, s8, v8
	s_mov_b32 s24, exec_lo
	s_wait_xcnt 0x0
	s_delay_alu instid0(VALU_DEP_1)
	v_cmpx_gt_i32_e64 s18, v4
	s_cbranch_execz .LBB31_21
.LBB31_27:                              ;   in Loop: Header=BB31_22 Depth=1
	v_dual_mov_b32 v5, v9 :: v_dual_mov_b32 v6, v8
	s_mov_b32 s25, 0
	s_branch .LBB31_29
.LBB31_28:                              ;   in Loop: Header=BB31_29 Depth=2
	global_load_b64 v[10:11], v7, s[16:17] scale_offset
	global_load_b64 v[12:13], v5, s[20:21] scale_offset
	v_dual_add_nc_u32 v6, 64, v6 :: v_dual_add_nc_u32 v4, 64, v4
	s_wait_loadcnt 0x0
	v_fma_f64 v[10:11], -v[2:3], v[10:11], v[12:13]
	global_store_b64 v5, v[10:11], s[20:21] scale_offset
	s_wait_xcnt 0x0
	v_dual_add_nc_u32 v5, s13, v5 :: v_dual_add_nc_u32 v7, s8, v6
	s_delay_alu instid0(VALU_DEP_1) | instskip(SKIP_1) | instid1(SALU_CYCLE_1)
	v_cmp_le_i32_e32 vcc_lo, s18, v7
	s_or_b32 s25, vcc_lo, s25
	s_and_not1_b32 exec_lo, exec_lo, s25
	s_cbranch_execz .LBB31_21
.LBB31_29:                              ;   Parent Loop BB31_22 Depth=1
                                        ; =>  This Inner Loop Header: Depth=2
	s_and_b32 vcc_lo, exec_lo, s11
	s_cbranch_vccz .LBB31_31
; %bb.30:                               ;   in Loop: Header=BB31_29 Depth=2
	v_add_nc_u32_e32 v7, s14, v6
	s_cbranch_execnz .LBB31_28
	s_branch .LBB31_32
.LBB31_31:                              ;   in Loop: Header=BB31_29 Depth=2
                                        ; implicit-def: $vgpr7
.LBB31_32:                              ;   in Loop: Header=BB31_29 Depth=2
	v_add_nc_u32_e32 v7, s10, v4
	s_delay_alu instid0(VALU_DEP_1)
	v_mad_u32 v7, v7, s18, s8
	s_branch .LBB31_28
.LBB31_33:
	s_and_b32 s8, s23, exec_lo
.LBB31_34:
	s_or_b32 exec_lo, exec_lo, s1
	v_cmp_eq_u32_e32 vcc_lo, 0, v0
	global_wb scope:SCOPE_DEV
	s_wait_loadcnt 0x0
	s_wait_storecnt 0x0
	global_inv scope:SCOPE_DEV
	s_wait_loadcnt 0x0
	s_barrier_signal -1
	s_barrier_wait -1
	s_and_b32 s0, vcc_lo, s0
	s_delay_alu instid0(SALU_CYCLE_1)
	s_and_saveexec_b32 s1, s0
	s_cbranch_execz .LBB31_38
; %bb.35:
	s_add_co_i32 s0, s6, s15
	s_delay_alu instid0(SALU_CYCLE_1)
	v_dual_mov_b32 v0, 1 :: v_dual_mov_b32 v1, s0
	global_store_b32 v1, v0, s[4:5] scale_offset scope:SCOPE_DEV
	s_wait_xcnt 0x0
	s_and_b32 exec_lo, exec_lo, s8
	s_cbranch_execz .LBB31_38
; %bb.36:
	v_mbcnt_lo_u32_b32 v0, exec_lo, 0
	s_delay_alu instid0(VALU_DEP_1)
	v_cmp_eq_u32_e32 vcc_lo, 0, v0
	s_and_b32 exec_lo, exec_lo, vcc_lo
	s_cbranch_execz .LBB31_38
; %bb.37:
	s_add_co_i32 s0, s6, s12
	s_delay_alu instid0(SALU_CYCLE_1)
	v_dual_mov_b32 v0, 0 :: v_dual_mov_b32 v1, s0
	global_atomic_min_i32 v0, v1, s[2:3] scope:SCOPE_DEV
.LBB31_38:
	s_endpgm
	.section	.rodata,"a",@progbits
	.p2align	6, 0x0
	.amdhsa_kernel _ZN9rocsparseL24bsrsm_lower_large_kernelILj1024ELj16ELb0EdEEviiPKiS2_PKT2_iPS3_iPiS2_S7_21rocsparse_index_base_20rocsparse_diag_type_20rocsparse_direction_
		.amdhsa_group_segment_fixed_size 0
		.amdhsa_private_segment_fixed_size 0
		.amdhsa_kernarg_size 92
		.amdhsa_user_sgpr_count 2
		.amdhsa_user_sgpr_dispatch_ptr 0
		.amdhsa_user_sgpr_queue_ptr 0
		.amdhsa_user_sgpr_kernarg_segment_ptr 1
		.amdhsa_user_sgpr_dispatch_id 0
		.amdhsa_user_sgpr_kernarg_preload_length 0
		.amdhsa_user_sgpr_kernarg_preload_offset 0
		.amdhsa_user_sgpr_private_segment_size 0
		.amdhsa_wavefront_size32 1
		.amdhsa_uses_dynamic_stack 0
		.amdhsa_enable_private_segment 0
		.amdhsa_system_sgpr_workgroup_id_x 1
		.amdhsa_system_sgpr_workgroup_id_y 0
		.amdhsa_system_sgpr_workgroup_id_z 0
		.amdhsa_system_sgpr_workgroup_info 0
		.amdhsa_system_vgpr_workitem_id 0
		.amdhsa_next_free_vgpr 18
		.amdhsa_next_free_sgpr 36
		.amdhsa_named_barrier_count 0
		.amdhsa_reserve_vcc 1
		.amdhsa_float_round_mode_32 0
		.amdhsa_float_round_mode_16_64 0
		.amdhsa_float_denorm_mode_32 3
		.amdhsa_float_denorm_mode_16_64 3
		.amdhsa_fp16_overflow 0
		.amdhsa_memory_ordered 1
		.amdhsa_forward_progress 1
		.amdhsa_inst_pref_size 13
		.amdhsa_round_robin_scheduling 0
		.amdhsa_exception_fp_ieee_invalid_op 0
		.amdhsa_exception_fp_denorm_src 0
		.amdhsa_exception_fp_ieee_div_zero 0
		.amdhsa_exception_fp_ieee_overflow 0
		.amdhsa_exception_fp_ieee_underflow 0
		.amdhsa_exception_fp_ieee_inexact 0
		.amdhsa_exception_int_div_zero 0
	.end_amdhsa_kernel
	.section	.text._ZN9rocsparseL24bsrsm_lower_large_kernelILj1024ELj16ELb0EdEEviiPKiS2_PKT2_iPS3_iPiS2_S7_21rocsparse_index_base_20rocsparse_diag_type_20rocsparse_direction_,"axG",@progbits,_ZN9rocsparseL24bsrsm_lower_large_kernelILj1024ELj16ELb0EdEEviiPKiS2_PKT2_iPS3_iPiS2_S7_21rocsparse_index_base_20rocsparse_diag_type_20rocsparse_direction_,comdat
.Lfunc_end31:
	.size	_ZN9rocsparseL24bsrsm_lower_large_kernelILj1024ELj16ELb0EdEEviiPKiS2_PKT2_iPS3_iPiS2_S7_21rocsparse_index_base_20rocsparse_diag_type_20rocsparse_direction_, .Lfunc_end31-_ZN9rocsparseL24bsrsm_lower_large_kernelILj1024ELj16ELb0EdEEviiPKiS2_PKT2_iPS3_iPiS2_S7_21rocsparse_index_base_20rocsparse_diag_type_20rocsparse_direction_
                                        ; -- End function
	.set _ZN9rocsparseL24bsrsm_lower_large_kernelILj1024ELj16ELb0EdEEviiPKiS2_PKT2_iPS3_iPiS2_S7_21rocsparse_index_base_20rocsparse_diag_type_20rocsparse_direction_.num_vgpr, 18
	.set _ZN9rocsparseL24bsrsm_lower_large_kernelILj1024ELj16ELb0EdEEviiPKiS2_PKT2_iPS3_iPiS2_S7_21rocsparse_index_base_20rocsparse_diag_type_20rocsparse_direction_.num_agpr, 0
	.set _ZN9rocsparseL24bsrsm_lower_large_kernelILj1024ELj16ELb0EdEEviiPKiS2_PKT2_iPS3_iPiS2_S7_21rocsparse_index_base_20rocsparse_diag_type_20rocsparse_direction_.numbered_sgpr, 36
	.set _ZN9rocsparseL24bsrsm_lower_large_kernelILj1024ELj16ELb0EdEEviiPKiS2_PKT2_iPS3_iPiS2_S7_21rocsparse_index_base_20rocsparse_diag_type_20rocsparse_direction_.num_named_barrier, 0
	.set _ZN9rocsparseL24bsrsm_lower_large_kernelILj1024ELj16ELb0EdEEviiPKiS2_PKT2_iPS3_iPiS2_S7_21rocsparse_index_base_20rocsparse_diag_type_20rocsparse_direction_.private_seg_size, 0
	.set _ZN9rocsparseL24bsrsm_lower_large_kernelILj1024ELj16ELb0EdEEviiPKiS2_PKT2_iPS3_iPiS2_S7_21rocsparse_index_base_20rocsparse_diag_type_20rocsparse_direction_.uses_vcc, 1
	.set _ZN9rocsparseL24bsrsm_lower_large_kernelILj1024ELj16ELb0EdEEviiPKiS2_PKT2_iPS3_iPiS2_S7_21rocsparse_index_base_20rocsparse_diag_type_20rocsparse_direction_.uses_flat_scratch, 0
	.set _ZN9rocsparseL24bsrsm_lower_large_kernelILj1024ELj16ELb0EdEEviiPKiS2_PKT2_iPS3_iPiS2_S7_21rocsparse_index_base_20rocsparse_diag_type_20rocsparse_direction_.has_dyn_sized_stack, 0
	.set _ZN9rocsparseL24bsrsm_lower_large_kernelILj1024ELj16ELb0EdEEviiPKiS2_PKT2_iPS3_iPiS2_S7_21rocsparse_index_base_20rocsparse_diag_type_20rocsparse_direction_.has_recursion, 0
	.set _ZN9rocsparseL24bsrsm_lower_large_kernelILj1024ELj16ELb0EdEEviiPKiS2_PKT2_iPS3_iPiS2_S7_21rocsparse_index_base_20rocsparse_diag_type_20rocsparse_direction_.has_indirect_call, 0
	.section	.AMDGPU.csdata,"",@progbits
; Kernel info:
; codeLenInByte = 1620
; TotalNumSgprs: 38
; NumVgprs: 18
; ScratchSize: 0
; MemoryBound: 0
; FloatMode: 240
; IeeeMode: 1
; LDSByteSize: 0 bytes/workgroup (compile time only)
; SGPRBlocks: 0
; VGPRBlocks: 1
; NumSGPRsForWavesPerEU: 38
; NumVGPRsForWavesPerEU: 18
; NamedBarCnt: 0
; Occupancy: 16
; WaveLimiterHint : 1
; COMPUTE_PGM_RSRC2:SCRATCH_EN: 0
; COMPUTE_PGM_RSRC2:USER_SGPR: 2
; COMPUTE_PGM_RSRC2:TRAP_HANDLER: 0
; COMPUTE_PGM_RSRC2:TGID_X_EN: 1
; COMPUTE_PGM_RSRC2:TGID_Y_EN: 0
; COMPUTE_PGM_RSRC2:TGID_Z_EN: 0
; COMPUTE_PGM_RSRC2:TIDIG_COMP_CNT: 0
	.section	.text._ZN9rocsparseL16bsrsm_copy_scaleILj1024E21rocsparse_complex_numIfEEEviiNS_24const_host_device_scalarIT0_EEPKS4_lPS4_lb,"axG",@progbits,_ZN9rocsparseL16bsrsm_copy_scaleILj1024E21rocsparse_complex_numIfEEEviiNS_24const_host_device_scalarIT0_EEPKS4_lPS4_lb,comdat
	.globl	_ZN9rocsparseL16bsrsm_copy_scaleILj1024E21rocsparse_complex_numIfEEEviiNS_24const_host_device_scalarIT0_EEPKS4_lPS4_lb ; -- Begin function _ZN9rocsparseL16bsrsm_copy_scaleILj1024E21rocsparse_complex_numIfEEEviiNS_24const_host_device_scalarIT0_EEPKS4_lPS4_lb
	.p2align	8
	.type	_ZN9rocsparseL16bsrsm_copy_scaleILj1024E21rocsparse_complex_numIfEEEviiNS_24const_host_device_scalarIT0_EEPKS4_lPS4_lb,@function
_ZN9rocsparseL16bsrsm_copy_scaleILj1024E21rocsparse_complex_numIfEEEviiNS_24const_host_device_scalarIT0_EEPKS4_lPS4_lb: ; @_ZN9rocsparseL16bsrsm_copy_scaleILj1024E21rocsparse_complex_numIfEEEviiNS_24const_host_device_scalarIT0_EEPKS4_lPS4_lb
; %bb.0:
	s_clause 0x1
	s_load_b32 s2, s[0:1], 0x30
	s_load_b256 s[4:11], s[0:1], 0x8
	s_wait_kmcnt 0x0
	s_bitcmp1_b32 s2, 0
	s_cselect_b32 s2, -1, 0
	s_delay_alu instid0(SALU_CYCLE_1)
	s_xor_b32 s3, s2, -1
	s_and_b32 vcc_lo, exec_lo, s2
	s_mov_b32 s2, s4
	s_cbranch_vccnz .LBB32_2
; %bb.1:
	s_load_b32 s2, s[4:5], 0x0
.LBB32_2:
	s_and_not1_b32 vcc_lo, exec_lo, s3
	s_cbranch_vccnz .LBB32_4
; %bb.3:
	s_wait_xcnt 0x0
	s_load_b32 s5, s[4:5], 0x4
.LBB32_4:
	s_clause 0x1
	s_load_b32 s3, s[0:1], 0x44
	s_load_b64 s[12:13], s[0:1], 0x0
	s_wait_xcnt 0x0
	s_bfe_u32 s4, ttmp6, 0x4000c
	s_and_b32 s14, ttmp6, 15
	s_add_co_i32 s4, s4, 1
	s_getreg_b32 s15, hwreg(HW_REG_IB_STS2, 6, 4)
	s_mul_i32 s4, ttmp9, s4
	s_delay_alu instid0(SALU_CYCLE_1)
	s_add_co_i32 s14, s14, s4
	s_wait_kmcnt 0x0
	s_and_b32 s3, s3, 0xffff
	s_cmp_eq_u32 s15, 0
	s_cselect_b32 s4, ttmp9, s14
	s_cmp_gt_i32 s13, 0
	v_mad_u32 v0, s4, s3, v0
	s_cselect_b32 s3, -1, 0
	s_delay_alu instid0(VALU_DEP_1) | instskip(SKIP_1) | instid1(SALU_CYCLE_1)
	v_cmp_gt_i32_e32 vcc_lo, s12, v0
	s_and_b32 s3, s3, vcc_lo
	s_and_saveexec_b32 s4, s3
	s_cbranch_execz .LBB32_7
; %bb.5:
	s_load_b64 s[0:1], s[0:1], 0x28
	v_ashrrev_i32_e32 v1, 31, v0
	s_mov_b32 s3, s5
	s_delay_alu instid0(SALU_CYCLE_1) | instskip(NEXT) | instid1(VALU_DEP_2)
	v_mov_b64_e32 v[6:7], s[2:3]
	v_mul_u64_e32 v[2:3], s[8:9], v[0:1]
	s_wait_kmcnt 0x0
	v_mul_u64_e32 v[4:5], s[0:1], v[0:1]
	s_xor_b32 s0, s5, 0x80000000
	s_mov_b32 s1, s2
	s_delay_alu instid0(SALU_CYCLE_1) | instskip(NEXT) | instid1(VALU_DEP_3)
	v_mov_b64_e32 v[0:1], s[0:1]
	v_lshl_add_u64 v[2:3], v[2:3], 3, s[6:7]
	s_delay_alu instid0(VALU_DEP_1) | instskip(NEXT) | instid1(VALU_DEP_4)
	v_add_nc_u64_e32 v[2:3], 4, v[2:3]
	v_lshl_add_u64 v[4:5], v[4:5], 3, s[10:11]
.LBB32_6:                               ; =>This Inner Loop Header: Depth=1
	global_load_b64 v[8:9], v[2:3], off offset:-4
	s_wait_xcnt 0x0
	v_add_nc_u64_e32 v[2:3], 8, v[2:3]
	s_add_co_i32 s13, s13, -1
	s_delay_alu instid0(SALU_CYCLE_1) | instskip(SKIP_2) | instid1(VALU_DEP_1)
	s_cmp_lg_u32 s13, 0
	s_wait_loadcnt 0x0
	v_pk_mul_f32 v[10:11], v[8:9], v[0:1] op_sel:[1,0]
	v_pk_fma_f32 v[8:9], v[6:7], v[8:9], v[10:11] op_sel_hi:[1,0,1]
	global_store_b64 v[4:5], v[8:9], off
	s_wait_xcnt 0x0
	v_add_nc_u64_e32 v[4:5], 8, v[4:5]
	s_cbranch_scc1 .LBB32_6
.LBB32_7:
	s_endpgm
	.section	.rodata,"a",@progbits
	.p2align	6, 0x0
	.amdhsa_kernel _ZN9rocsparseL16bsrsm_copy_scaleILj1024E21rocsparse_complex_numIfEEEviiNS_24const_host_device_scalarIT0_EEPKS4_lPS4_lb
		.amdhsa_group_segment_fixed_size 0
		.amdhsa_private_segment_fixed_size 0
		.amdhsa_kernarg_size 312
		.amdhsa_user_sgpr_count 2
		.amdhsa_user_sgpr_dispatch_ptr 0
		.amdhsa_user_sgpr_queue_ptr 0
		.amdhsa_user_sgpr_kernarg_segment_ptr 1
		.amdhsa_user_sgpr_dispatch_id 0
		.amdhsa_user_sgpr_kernarg_preload_length 0
		.amdhsa_user_sgpr_kernarg_preload_offset 0
		.amdhsa_user_sgpr_private_segment_size 0
		.amdhsa_wavefront_size32 1
		.amdhsa_uses_dynamic_stack 0
		.amdhsa_enable_private_segment 0
		.amdhsa_system_sgpr_workgroup_id_x 1
		.amdhsa_system_sgpr_workgroup_id_y 0
		.amdhsa_system_sgpr_workgroup_id_z 0
		.amdhsa_system_sgpr_workgroup_info 0
		.amdhsa_system_vgpr_workitem_id 0
		.amdhsa_next_free_vgpr 12
		.amdhsa_next_free_sgpr 16
		.amdhsa_named_barrier_count 0
		.amdhsa_reserve_vcc 1
		.amdhsa_float_round_mode_32 0
		.amdhsa_float_round_mode_16_64 0
		.amdhsa_float_denorm_mode_32 3
		.amdhsa_float_denorm_mode_16_64 3
		.amdhsa_fp16_overflow 0
		.amdhsa_memory_ordered 1
		.amdhsa_forward_progress 1
		.amdhsa_inst_pref_size 3
		.amdhsa_round_robin_scheduling 0
		.amdhsa_exception_fp_ieee_invalid_op 0
		.amdhsa_exception_fp_denorm_src 0
		.amdhsa_exception_fp_ieee_div_zero 0
		.amdhsa_exception_fp_ieee_overflow 0
		.amdhsa_exception_fp_ieee_underflow 0
		.amdhsa_exception_fp_ieee_inexact 0
		.amdhsa_exception_int_div_zero 0
	.end_amdhsa_kernel
	.section	.text._ZN9rocsparseL16bsrsm_copy_scaleILj1024E21rocsparse_complex_numIfEEEviiNS_24const_host_device_scalarIT0_EEPKS4_lPS4_lb,"axG",@progbits,_ZN9rocsparseL16bsrsm_copy_scaleILj1024E21rocsparse_complex_numIfEEEviiNS_24const_host_device_scalarIT0_EEPKS4_lPS4_lb,comdat
.Lfunc_end32:
	.size	_ZN9rocsparseL16bsrsm_copy_scaleILj1024E21rocsparse_complex_numIfEEEviiNS_24const_host_device_scalarIT0_EEPKS4_lPS4_lb, .Lfunc_end32-_ZN9rocsparseL16bsrsm_copy_scaleILj1024E21rocsparse_complex_numIfEEEviiNS_24const_host_device_scalarIT0_EEPKS4_lPS4_lb
                                        ; -- End function
	.set _ZN9rocsparseL16bsrsm_copy_scaleILj1024E21rocsparse_complex_numIfEEEviiNS_24const_host_device_scalarIT0_EEPKS4_lPS4_lb.num_vgpr, 12
	.set _ZN9rocsparseL16bsrsm_copy_scaleILj1024E21rocsparse_complex_numIfEEEviiNS_24const_host_device_scalarIT0_EEPKS4_lPS4_lb.num_agpr, 0
	.set _ZN9rocsparseL16bsrsm_copy_scaleILj1024E21rocsparse_complex_numIfEEEviiNS_24const_host_device_scalarIT0_EEPKS4_lPS4_lb.numbered_sgpr, 16
	.set _ZN9rocsparseL16bsrsm_copy_scaleILj1024E21rocsparse_complex_numIfEEEviiNS_24const_host_device_scalarIT0_EEPKS4_lPS4_lb.num_named_barrier, 0
	.set _ZN9rocsparseL16bsrsm_copy_scaleILj1024E21rocsparse_complex_numIfEEEviiNS_24const_host_device_scalarIT0_EEPKS4_lPS4_lb.private_seg_size, 0
	.set _ZN9rocsparseL16bsrsm_copy_scaleILj1024E21rocsparse_complex_numIfEEEviiNS_24const_host_device_scalarIT0_EEPKS4_lPS4_lb.uses_vcc, 1
	.set _ZN9rocsparseL16bsrsm_copy_scaleILj1024E21rocsparse_complex_numIfEEEviiNS_24const_host_device_scalarIT0_EEPKS4_lPS4_lb.uses_flat_scratch, 0
	.set _ZN9rocsparseL16bsrsm_copy_scaleILj1024E21rocsparse_complex_numIfEEEviiNS_24const_host_device_scalarIT0_EEPKS4_lPS4_lb.has_dyn_sized_stack, 0
	.set _ZN9rocsparseL16bsrsm_copy_scaleILj1024E21rocsparse_complex_numIfEEEviiNS_24const_host_device_scalarIT0_EEPKS4_lPS4_lb.has_recursion, 0
	.set _ZN9rocsparseL16bsrsm_copy_scaleILj1024E21rocsparse_complex_numIfEEEviiNS_24const_host_device_scalarIT0_EEPKS4_lPS4_lb.has_indirect_call, 0
	.section	.AMDGPU.csdata,"",@progbits
; Kernel info:
; codeLenInByte = 352
; TotalNumSgprs: 18
; NumVgprs: 12
; ScratchSize: 0
; MemoryBound: 0
; FloatMode: 240
; IeeeMode: 1
; LDSByteSize: 0 bytes/workgroup (compile time only)
; SGPRBlocks: 0
; VGPRBlocks: 0
; NumSGPRsForWavesPerEU: 18
; NumVGPRsForWavesPerEU: 12
; NamedBarCnt: 0
; Occupancy: 16
; WaveLimiterHint : 0
; COMPUTE_PGM_RSRC2:SCRATCH_EN: 0
; COMPUTE_PGM_RSRC2:USER_SGPR: 2
; COMPUTE_PGM_RSRC2:TRAP_HANDLER: 0
; COMPUTE_PGM_RSRC2:TGID_X_EN: 1
; COMPUTE_PGM_RSRC2:TGID_Y_EN: 0
; COMPUTE_PGM_RSRC2:TGID_Z_EN: 0
; COMPUTE_PGM_RSRC2:TIDIG_COMP_CNT: 0
	.section	.text._ZN9rocsparseL10bsr_gatherILj4ELj64ELj2Ei21rocsparse_complex_numIfEEEv20rocsparse_direction_T2_PKS4_PKT3_PS7_S4_,"axG",@progbits,_ZN9rocsparseL10bsr_gatherILj4ELj64ELj2Ei21rocsparse_complex_numIfEEEv20rocsparse_direction_T2_PKS4_PKT3_PS7_S4_,comdat
	.globl	_ZN9rocsparseL10bsr_gatherILj4ELj64ELj2Ei21rocsparse_complex_numIfEEEv20rocsparse_direction_T2_PKS4_PKT3_PS7_S4_ ; -- Begin function _ZN9rocsparseL10bsr_gatherILj4ELj64ELj2Ei21rocsparse_complex_numIfEEEv20rocsparse_direction_T2_PKS4_PKT3_PS7_S4_
	.p2align	8
	.type	_ZN9rocsparseL10bsr_gatherILj4ELj64ELj2Ei21rocsparse_complex_numIfEEEv20rocsparse_direction_T2_PKS4_PKT3_PS7_S4_,@function
_ZN9rocsparseL10bsr_gatherILj4ELj64ELj2Ei21rocsparse_complex_numIfEEEv20rocsparse_direction_T2_PKS4_PKT3_PS7_S4_: ; @_ZN9rocsparseL10bsr_gatherILj4ELj64ELj2Ei21rocsparse_complex_numIfEEEv20rocsparse_direction_T2_PKS4_PKT3_PS7_S4_
; %bb.0:
	s_load_b64 s[8:9], s[0:1], 0x0
	s_bfe_u32 s2, ttmp6, 0x4000c
	s_and_b32 s3, ttmp6, 15
	s_add_co_i32 s2, s2, 1
	v_bfe_u32 v1, v0, 10, 10
	s_mul_i32 s2, ttmp9, s2
	s_delay_alu instid0(SALU_CYCLE_1) | instskip(SKIP_1) | instid1(SALU_CYCLE_1)
	s_add_co_i32 s3, s3, s2
	s_getreg_b32 s2, hwreg(HW_REG_IB_STS2, 6, 4)
	s_cmp_eq_u32 s2, 0
	s_cselect_b32 s2, ttmp9, s3
	s_delay_alu instid0(SALU_CYCLE_1) | instskip(SKIP_2) | instid1(VALU_DEP_1)
	v_lshl_add_u32 v2, s2, 6, v1
	s_mov_b32 s2, exec_lo
	s_wait_kmcnt 0x0
	v_cmpx_gt_i32_e64 s9, v2
	s_cbranch_execz .LBB33_15
; %bb.1:
	s_load_b32 s9, s[0:1], 0x20
	v_and_b32_e32 v1, 1, v0
	s_wait_kmcnt 0x0
	s_delay_alu instid0(VALU_DEP_1)
	v_cmp_gt_i32_e32 vcc_lo, s9, v1
	s_and_b32 exec_lo, exec_lo, vcc_lo
	s_cbranch_execz .LBB33_15
; %bb.2:
	s_clause 0x1
	s_load_b128 s[4:7], s[0:1], 0x8
	s_load_b64 s[2:3], s[0:1], 0x18
	v_and_b32_e32 v0, 0x3ff, v0
	s_cmp_lg_u32 s8, 0
	s_wait_xcnt 0x0
	s_mov_b32 s1, 0
	s_delay_alu instid0(VALU_DEP_1) | instskip(NEXT) | instid1(VALU_DEP_1)
	v_lshrrev_b32_e32 v0, 1, v0
	v_cmp_gt_u32_e64 s0, s9, v0
	s_wait_kmcnt 0x0
	global_load_b32 v3, v2, s[4:5] scale_offset
	s_wait_xcnt 0x0
	v_mul_lo_u32 v2, s9, v2
	s_cselect_b32 s4, -1, 0
	s_lshl_b32 s5, s9, 1
	s_wait_loadcnt 0x0
	v_mul_lo_u32 v3, v3, s9
	s_delay_alu instid0(VALU_DEP_1) | instskip(NEXT) | instid1(VALU_DEP_1)
	v_dual_add_nc_u32 v4, v2, v1 :: v_dual_add_nc_u32 v5, v3, v1
	v_mul_lo_u32 v4, s9, v4
	s_delay_alu instid0(VALU_DEP_2)
	v_mul_lo_u32 v5, s9, v5
	s_branch .LBB33_4
.LBB33_3:                               ;   in Loop: Header=BB33_4 Depth=1
	s_or_b32 exec_lo, exec_lo, s8
	s_delay_alu instid0(VALU_DEP_2) | instskip(NEXT) | instid1(VALU_DEP_2)
	v_dual_add_nc_u32 v1, 2, v1 :: v_dual_add_nc_u32 v4, s5, v4
	v_add_nc_u32_e32 v5, s5, v5
	s_delay_alu instid0(VALU_DEP_2) | instskip(SKIP_1) | instid1(SALU_CYCLE_1)
	v_cmp_le_i32_e32 vcc_lo, s9, v1
	s_or_b32 s1, vcc_lo, s1
	s_and_not1_b32 exec_lo, exec_lo, s1
	s_cbranch_execz .LBB33_15
.LBB33_4:                               ; =>This Loop Header: Depth=1
                                        ;     Child Loop BB33_7 Depth 2
	s_and_saveexec_b32 s8, s0
	s_cbranch_execz .LBB33_3
; %bb.5:                                ;   in Loop: Header=BB33_4 Depth=1
	v_mov_b32_e32 v6, v0
	s_mov_b32 s10, 0
	s_branch .LBB33_7
.LBB33_6:                               ;   in Loop: Header=BB33_7 Depth=2
	global_load_b64 v[10:11], v7, s[6:7] scale_offset
	v_add_nc_u32_e32 v6, 2, v6
	s_delay_alu instid0(VALU_DEP_1)
	v_cmp_le_i32_e32 vcc_lo, s9, v6
	s_or_b32 s10, vcc_lo, s10
	s_wait_loadcnt 0x0
	global_store_b64 v8, v[10:11], s[2:3] scale_offset
	s_wait_xcnt 0x0
	s_and_not1_b32 exec_lo, exec_lo, s10
	s_cbranch_execz .LBB33_3
.LBB33_7:                               ;   Parent Loop BB33_4 Depth=1
                                        ; =>  This Inner Loop Header: Depth=2
	s_and_b32 vcc_lo, exec_lo, s4
	s_cbranch_vccz .LBB33_12
; %bb.8:                                ;   in Loop: Header=BB33_7 Depth=2
	s_delay_alu instid0(VALU_DEP_2)
	v_add_nc_u32_e32 v7, v5, v6
	s_cbranch_execnz .LBB33_10
.LBB33_9:                               ;   in Loop: Header=BB33_7 Depth=2
	v_add_nc_u32_e32 v7, v6, v3
	s_delay_alu instid0(VALU_DEP_1)
	v_mad_u32 v7, v7, s9, v1
.LBB33_10:                              ;   in Loop: Header=BB33_7 Depth=2
	s_and_b32 vcc_lo, exec_lo, s4
	s_cbranch_vccz .LBB33_13
; %bb.11:                               ;   in Loop: Header=BB33_7 Depth=2
	v_add_nc_u32_e32 v8, v6, v2
	s_delay_alu instid0(VALU_DEP_1)
	v_mad_u32 v8, v8, s9, v1
	s_cbranch_execnz .LBB33_6
	s_branch .LBB33_14
.LBB33_12:                              ;   in Loop: Header=BB33_7 Depth=2
                                        ; implicit-def: $vgpr7
	s_branch .LBB33_9
.LBB33_13:                              ;   in Loop: Header=BB33_7 Depth=2
                                        ; implicit-def: $vgpr8
.LBB33_14:                              ;   in Loop: Header=BB33_7 Depth=2
	v_add_nc_u32_e32 v8, v4, v6
	s_branch .LBB33_6
.LBB33_15:
	s_endpgm
	.section	.rodata,"a",@progbits
	.p2align	6, 0x0
	.amdhsa_kernel _ZN9rocsparseL10bsr_gatherILj4ELj64ELj2Ei21rocsparse_complex_numIfEEEv20rocsparse_direction_T2_PKS4_PKT3_PS7_S4_
		.amdhsa_group_segment_fixed_size 0
		.amdhsa_private_segment_fixed_size 0
		.amdhsa_kernarg_size 36
		.amdhsa_user_sgpr_count 2
		.amdhsa_user_sgpr_dispatch_ptr 0
		.amdhsa_user_sgpr_queue_ptr 0
		.amdhsa_user_sgpr_kernarg_segment_ptr 1
		.amdhsa_user_sgpr_dispatch_id 0
		.amdhsa_user_sgpr_kernarg_preload_length 0
		.amdhsa_user_sgpr_kernarg_preload_offset 0
		.amdhsa_user_sgpr_private_segment_size 0
		.amdhsa_wavefront_size32 1
		.amdhsa_uses_dynamic_stack 0
		.amdhsa_enable_private_segment 0
		.amdhsa_system_sgpr_workgroup_id_x 1
		.amdhsa_system_sgpr_workgroup_id_y 0
		.amdhsa_system_sgpr_workgroup_id_z 0
		.amdhsa_system_sgpr_workgroup_info 0
		.amdhsa_system_vgpr_workitem_id 1
		.amdhsa_next_free_vgpr 12
		.amdhsa_next_free_sgpr 11
		.amdhsa_named_barrier_count 0
		.amdhsa_reserve_vcc 1
		.amdhsa_float_round_mode_32 0
		.amdhsa_float_round_mode_16_64 0
		.amdhsa_float_denorm_mode_32 3
		.amdhsa_float_denorm_mode_16_64 3
		.amdhsa_fp16_overflow 0
		.amdhsa_memory_ordered 1
		.amdhsa_forward_progress 1
		.amdhsa_inst_pref_size 4
		.amdhsa_round_robin_scheduling 0
		.amdhsa_exception_fp_ieee_invalid_op 0
		.amdhsa_exception_fp_denorm_src 0
		.amdhsa_exception_fp_ieee_div_zero 0
		.amdhsa_exception_fp_ieee_overflow 0
		.amdhsa_exception_fp_ieee_underflow 0
		.amdhsa_exception_fp_ieee_inexact 0
		.amdhsa_exception_int_div_zero 0
	.end_amdhsa_kernel
	.section	.text._ZN9rocsparseL10bsr_gatherILj4ELj64ELj2Ei21rocsparse_complex_numIfEEEv20rocsparse_direction_T2_PKS4_PKT3_PS7_S4_,"axG",@progbits,_ZN9rocsparseL10bsr_gatherILj4ELj64ELj2Ei21rocsparse_complex_numIfEEEv20rocsparse_direction_T2_PKS4_PKT3_PS7_S4_,comdat
.Lfunc_end33:
	.size	_ZN9rocsparseL10bsr_gatherILj4ELj64ELj2Ei21rocsparse_complex_numIfEEEv20rocsparse_direction_T2_PKS4_PKT3_PS7_S4_, .Lfunc_end33-_ZN9rocsparseL10bsr_gatherILj4ELj64ELj2Ei21rocsparse_complex_numIfEEEv20rocsparse_direction_T2_PKS4_PKT3_PS7_S4_
                                        ; -- End function
	.set _ZN9rocsparseL10bsr_gatherILj4ELj64ELj2Ei21rocsparse_complex_numIfEEEv20rocsparse_direction_T2_PKS4_PKT3_PS7_S4_.num_vgpr, 12
	.set _ZN9rocsparseL10bsr_gatherILj4ELj64ELj2Ei21rocsparse_complex_numIfEEEv20rocsparse_direction_T2_PKS4_PKT3_PS7_S4_.num_agpr, 0
	.set _ZN9rocsparseL10bsr_gatherILj4ELj64ELj2Ei21rocsparse_complex_numIfEEEv20rocsparse_direction_T2_PKS4_PKT3_PS7_S4_.numbered_sgpr, 11
	.set _ZN9rocsparseL10bsr_gatherILj4ELj64ELj2Ei21rocsparse_complex_numIfEEEv20rocsparse_direction_T2_PKS4_PKT3_PS7_S4_.num_named_barrier, 0
	.set _ZN9rocsparseL10bsr_gatherILj4ELj64ELj2Ei21rocsparse_complex_numIfEEEv20rocsparse_direction_T2_PKS4_PKT3_PS7_S4_.private_seg_size, 0
	.set _ZN9rocsparseL10bsr_gatherILj4ELj64ELj2Ei21rocsparse_complex_numIfEEEv20rocsparse_direction_T2_PKS4_PKT3_PS7_S4_.uses_vcc, 1
	.set _ZN9rocsparseL10bsr_gatherILj4ELj64ELj2Ei21rocsparse_complex_numIfEEEv20rocsparse_direction_T2_PKS4_PKT3_PS7_S4_.uses_flat_scratch, 0
	.set _ZN9rocsparseL10bsr_gatherILj4ELj64ELj2Ei21rocsparse_complex_numIfEEEv20rocsparse_direction_T2_PKS4_PKT3_PS7_S4_.has_dyn_sized_stack, 0
	.set _ZN9rocsparseL10bsr_gatherILj4ELj64ELj2Ei21rocsparse_complex_numIfEEEv20rocsparse_direction_T2_PKS4_PKT3_PS7_S4_.has_recursion, 0
	.set _ZN9rocsparseL10bsr_gatherILj4ELj64ELj2Ei21rocsparse_complex_numIfEEEv20rocsparse_direction_T2_PKS4_PKT3_PS7_S4_.has_indirect_call, 0
	.section	.AMDGPU.csdata,"",@progbits
; Kernel info:
; codeLenInByte = 468
; TotalNumSgprs: 13
; NumVgprs: 12
; ScratchSize: 0
; MemoryBound: 0
; FloatMode: 240
; IeeeMode: 1
; LDSByteSize: 0 bytes/workgroup (compile time only)
; SGPRBlocks: 0
; VGPRBlocks: 0
; NumSGPRsForWavesPerEU: 13
; NumVGPRsForWavesPerEU: 12
; NamedBarCnt: 0
; Occupancy: 16
; WaveLimiterHint : 0
; COMPUTE_PGM_RSRC2:SCRATCH_EN: 0
; COMPUTE_PGM_RSRC2:USER_SGPR: 2
; COMPUTE_PGM_RSRC2:TRAP_HANDLER: 0
; COMPUTE_PGM_RSRC2:TGID_X_EN: 1
; COMPUTE_PGM_RSRC2:TGID_Y_EN: 0
; COMPUTE_PGM_RSRC2:TGID_Z_EN: 0
; COMPUTE_PGM_RSRC2:TIDIG_COMP_CNT: 1
	.section	.text._ZN9rocsparseL10bsr_gatherILj16ELj16ELj4Ei21rocsparse_complex_numIfEEEv20rocsparse_direction_T2_PKS4_PKT3_PS7_S4_,"axG",@progbits,_ZN9rocsparseL10bsr_gatherILj16ELj16ELj4Ei21rocsparse_complex_numIfEEEv20rocsparse_direction_T2_PKS4_PKT3_PS7_S4_,comdat
	.globl	_ZN9rocsparseL10bsr_gatherILj16ELj16ELj4Ei21rocsparse_complex_numIfEEEv20rocsparse_direction_T2_PKS4_PKT3_PS7_S4_ ; -- Begin function _ZN9rocsparseL10bsr_gatherILj16ELj16ELj4Ei21rocsparse_complex_numIfEEEv20rocsparse_direction_T2_PKS4_PKT3_PS7_S4_
	.p2align	8
	.type	_ZN9rocsparseL10bsr_gatherILj16ELj16ELj4Ei21rocsparse_complex_numIfEEEv20rocsparse_direction_T2_PKS4_PKT3_PS7_S4_,@function
_ZN9rocsparseL10bsr_gatherILj16ELj16ELj4Ei21rocsparse_complex_numIfEEEv20rocsparse_direction_T2_PKS4_PKT3_PS7_S4_: ; @_ZN9rocsparseL10bsr_gatherILj16ELj16ELj4Ei21rocsparse_complex_numIfEEEv20rocsparse_direction_T2_PKS4_PKT3_PS7_S4_
; %bb.0:
	s_load_b64 s[8:9], s[0:1], 0x0
	s_bfe_u32 s2, ttmp6, 0x4000c
	s_and_b32 s3, ttmp6, 15
	s_add_co_i32 s2, s2, 1
	v_bfe_u32 v1, v0, 10, 10
	s_mul_i32 s2, ttmp9, s2
	s_delay_alu instid0(SALU_CYCLE_1) | instskip(SKIP_1) | instid1(SALU_CYCLE_1)
	s_add_co_i32 s3, s3, s2
	s_getreg_b32 s2, hwreg(HW_REG_IB_STS2, 6, 4)
	s_cmp_eq_u32 s2, 0
	s_cselect_b32 s2, ttmp9, s3
	s_delay_alu instid0(SALU_CYCLE_1) | instskip(SKIP_2) | instid1(VALU_DEP_1)
	v_lshl_add_u32 v2, s2, 4, v1
	s_mov_b32 s2, exec_lo
	s_wait_kmcnt 0x0
	v_cmpx_gt_i32_e64 s9, v2
	s_cbranch_execz .LBB34_15
; %bb.1:
	s_load_b32 s9, s[0:1], 0x20
	v_and_b32_e32 v1, 3, v0
	s_wait_kmcnt 0x0
	s_delay_alu instid0(VALU_DEP_1)
	v_cmp_gt_i32_e32 vcc_lo, s9, v1
	s_and_b32 exec_lo, exec_lo, vcc_lo
	s_cbranch_execz .LBB34_15
; %bb.2:
	s_clause 0x1
	s_load_b128 s[4:7], s[0:1], 0x8
	s_load_b64 s[2:3], s[0:1], 0x18
	v_and_b32_e32 v0, 0x3ff, v0
	s_cmp_lg_u32 s8, 0
	s_wait_xcnt 0x0
	s_mov_b32 s1, 0
	s_delay_alu instid0(VALU_DEP_1) | instskip(NEXT) | instid1(VALU_DEP_1)
	v_lshrrev_b32_e32 v0, 2, v0
	v_cmp_gt_u32_e64 s0, s9, v0
	s_wait_kmcnt 0x0
	global_load_b32 v3, v2, s[4:5] scale_offset
	s_wait_xcnt 0x0
	v_mul_lo_u32 v2, s9, v2
	s_cselect_b32 s4, -1, 0
	s_lshl_b32 s5, s9, 2
	s_wait_loadcnt 0x0
	v_mul_lo_u32 v3, v3, s9
	s_delay_alu instid0(VALU_DEP_1) | instskip(NEXT) | instid1(VALU_DEP_1)
	v_dual_add_nc_u32 v4, v2, v1 :: v_dual_add_nc_u32 v5, v3, v1
	v_mul_lo_u32 v4, s9, v4
	s_delay_alu instid0(VALU_DEP_2)
	v_mul_lo_u32 v5, s9, v5
	s_branch .LBB34_4
.LBB34_3:                               ;   in Loop: Header=BB34_4 Depth=1
	s_or_b32 exec_lo, exec_lo, s8
	s_delay_alu instid0(VALU_DEP_2) | instskip(NEXT) | instid1(VALU_DEP_2)
	v_dual_add_nc_u32 v1, 4, v1 :: v_dual_add_nc_u32 v4, s5, v4
	v_add_nc_u32_e32 v5, s5, v5
	s_delay_alu instid0(VALU_DEP_2) | instskip(SKIP_1) | instid1(SALU_CYCLE_1)
	v_cmp_le_i32_e32 vcc_lo, s9, v1
	s_or_b32 s1, vcc_lo, s1
	s_and_not1_b32 exec_lo, exec_lo, s1
	s_cbranch_execz .LBB34_15
.LBB34_4:                               ; =>This Loop Header: Depth=1
                                        ;     Child Loop BB34_7 Depth 2
	s_and_saveexec_b32 s8, s0
	s_cbranch_execz .LBB34_3
; %bb.5:                                ;   in Loop: Header=BB34_4 Depth=1
	v_mov_b32_e32 v6, v0
	s_mov_b32 s10, 0
	s_branch .LBB34_7
.LBB34_6:                               ;   in Loop: Header=BB34_7 Depth=2
	global_load_b64 v[10:11], v7, s[6:7] scale_offset
	v_add_nc_u32_e32 v6, 4, v6
	s_delay_alu instid0(VALU_DEP_1)
	v_cmp_le_i32_e32 vcc_lo, s9, v6
	s_or_b32 s10, vcc_lo, s10
	s_wait_loadcnt 0x0
	global_store_b64 v8, v[10:11], s[2:3] scale_offset
	s_wait_xcnt 0x0
	s_and_not1_b32 exec_lo, exec_lo, s10
	s_cbranch_execz .LBB34_3
.LBB34_7:                               ;   Parent Loop BB34_4 Depth=1
                                        ; =>  This Inner Loop Header: Depth=2
	s_and_b32 vcc_lo, exec_lo, s4
	s_cbranch_vccz .LBB34_12
; %bb.8:                                ;   in Loop: Header=BB34_7 Depth=2
	s_delay_alu instid0(VALU_DEP_2)
	v_add_nc_u32_e32 v7, v5, v6
	s_cbranch_execnz .LBB34_10
.LBB34_9:                               ;   in Loop: Header=BB34_7 Depth=2
	v_add_nc_u32_e32 v7, v6, v3
	s_delay_alu instid0(VALU_DEP_1)
	v_mad_u32 v7, v7, s9, v1
.LBB34_10:                              ;   in Loop: Header=BB34_7 Depth=2
	s_and_b32 vcc_lo, exec_lo, s4
	s_cbranch_vccz .LBB34_13
; %bb.11:                               ;   in Loop: Header=BB34_7 Depth=2
	v_add_nc_u32_e32 v8, v6, v2
	s_delay_alu instid0(VALU_DEP_1)
	v_mad_u32 v8, v8, s9, v1
	s_cbranch_execnz .LBB34_6
	s_branch .LBB34_14
.LBB34_12:                              ;   in Loop: Header=BB34_7 Depth=2
                                        ; implicit-def: $vgpr7
	s_branch .LBB34_9
.LBB34_13:                              ;   in Loop: Header=BB34_7 Depth=2
                                        ; implicit-def: $vgpr8
.LBB34_14:                              ;   in Loop: Header=BB34_7 Depth=2
	v_add_nc_u32_e32 v8, v4, v6
	s_branch .LBB34_6
.LBB34_15:
	s_endpgm
	.section	.rodata,"a",@progbits
	.p2align	6, 0x0
	.amdhsa_kernel _ZN9rocsparseL10bsr_gatherILj16ELj16ELj4Ei21rocsparse_complex_numIfEEEv20rocsparse_direction_T2_PKS4_PKT3_PS7_S4_
		.amdhsa_group_segment_fixed_size 0
		.amdhsa_private_segment_fixed_size 0
		.amdhsa_kernarg_size 36
		.amdhsa_user_sgpr_count 2
		.amdhsa_user_sgpr_dispatch_ptr 0
		.amdhsa_user_sgpr_queue_ptr 0
		.amdhsa_user_sgpr_kernarg_segment_ptr 1
		.amdhsa_user_sgpr_dispatch_id 0
		.amdhsa_user_sgpr_kernarg_preload_length 0
		.amdhsa_user_sgpr_kernarg_preload_offset 0
		.amdhsa_user_sgpr_private_segment_size 0
		.amdhsa_wavefront_size32 1
		.amdhsa_uses_dynamic_stack 0
		.amdhsa_enable_private_segment 0
		.amdhsa_system_sgpr_workgroup_id_x 1
		.amdhsa_system_sgpr_workgroup_id_y 0
		.amdhsa_system_sgpr_workgroup_id_z 0
		.amdhsa_system_sgpr_workgroup_info 0
		.amdhsa_system_vgpr_workitem_id 1
		.amdhsa_next_free_vgpr 12
		.amdhsa_next_free_sgpr 11
		.amdhsa_named_barrier_count 0
		.amdhsa_reserve_vcc 1
		.amdhsa_float_round_mode_32 0
		.amdhsa_float_round_mode_16_64 0
		.amdhsa_float_denorm_mode_32 3
		.amdhsa_float_denorm_mode_16_64 3
		.amdhsa_fp16_overflow 0
		.amdhsa_memory_ordered 1
		.amdhsa_forward_progress 1
		.amdhsa_inst_pref_size 4
		.amdhsa_round_robin_scheduling 0
		.amdhsa_exception_fp_ieee_invalid_op 0
		.amdhsa_exception_fp_denorm_src 0
		.amdhsa_exception_fp_ieee_div_zero 0
		.amdhsa_exception_fp_ieee_overflow 0
		.amdhsa_exception_fp_ieee_underflow 0
		.amdhsa_exception_fp_ieee_inexact 0
		.amdhsa_exception_int_div_zero 0
	.end_amdhsa_kernel
	.section	.text._ZN9rocsparseL10bsr_gatherILj16ELj16ELj4Ei21rocsparse_complex_numIfEEEv20rocsparse_direction_T2_PKS4_PKT3_PS7_S4_,"axG",@progbits,_ZN9rocsparseL10bsr_gatherILj16ELj16ELj4Ei21rocsparse_complex_numIfEEEv20rocsparse_direction_T2_PKS4_PKT3_PS7_S4_,comdat
.Lfunc_end34:
	.size	_ZN9rocsparseL10bsr_gatherILj16ELj16ELj4Ei21rocsparse_complex_numIfEEEv20rocsparse_direction_T2_PKS4_PKT3_PS7_S4_, .Lfunc_end34-_ZN9rocsparseL10bsr_gatherILj16ELj16ELj4Ei21rocsparse_complex_numIfEEEv20rocsparse_direction_T2_PKS4_PKT3_PS7_S4_
                                        ; -- End function
	.set _ZN9rocsparseL10bsr_gatherILj16ELj16ELj4Ei21rocsparse_complex_numIfEEEv20rocsparse_direction_T2_PKS4_PKT3_PS7_S4_.num_vgpr, 12
	.set _ZN9rocsparseL10bsr_gatherILj16ELj16ELj4Ei21rocsparse_complex_numIfEEEv20rocsparse_direction_T2_PKS4_PKT3_PS7_S4_.num_agpr, 0
	.set _ZN9rocsparseL10bsr_gatherILj16ELj16ELj4Ei21rocsparse_complex_numIfEEEv20rocsparse_direction_T2_PKS4_PKT3_PS7_S4_.numbered_sgpr, 11
	.set _ZN9rocsparseL10bsr_gatherILj16ELj16ELj4Ei21rocsparse_complex_numIfEEEv20rocsparse_direction_T2_PKS4_PKT3_PS7_S4_.num_named_barrier, 0
	.set _ZN9rocsparseL10bsr_gatherILj16ELj16ELj4Ei21rocsparse_complex_numIfEEEv20rocsparse_direction_T2_PKS4_PKT3_PS7_S4_.private_seg_size, 0
	.set _ZN9rocsparseL10bsr_gatherILj16ELj16ELj4Ei21rocsparse_complex_numIfEEEv20rocsparse_direction_T2_PKS4_PKT3_PS7_S4_.uses_vcc, 1
	.set _ZN9rocsparseL10bsr_gatherILj16ELj16ELj4Ei21rocsparse_complex_numIfEEEv20rocsparse_direction_T2_PKS4_PKT3_PS7_S4_.uses_flat_scratch, 0
	.set _ZN9rocsparseL10bsr_gatherILj16ELj16ELj4Ei21rocsparse_complex_numIfEEEv20rocsparse_direction_T2_PKS4_PKT3_PS7_S4_.has_dyn_sized_stack, 0
	.set _ZN9rocsparseL10bsr_gatherILj16ELj16ELj4Ei21rocsparse_complex_numIfEEEv20rocsparse_direction_T2_PKS4_PKT3_PS7_S4_.has_recursion, 0
	.set _ZN9rocsparseL10bsr_gatherILj16ELj16ELj4Ei21rocsparse_complex_numIfEEEv20rocsparse_direction_T2_PKS4_PKT3_PS7_S4_.has_indirect_call, 0
	.section	.AMDGPU.csdata,"",@progbits
; Kernel info:
; codeLenInByte = 468
; TotalNumSgprs: 13
; NumVgprs: 12
; ScratchSize: 0
; MemoryBound: 0
; FloatMode: 240
; IeeeMode: 1
; LDSByteSize: 0 bytes/workgroup (compile time only)
; SGPRBlocks: 0
; VGPRBlocks: 0
; NumSGPRsForWavesPerEU: 13
; NumVGPRsForWavesPerEU: 12
; NamedBarCnt: 0
; Occupancy: 16
; WaveLimiterHint : 0
; COMPUTE_PGM_RSRC2:SCRATCH_EN: 0
; COMPUTE_PGM_RSRC2:USER_SGPR: 2
; COMPUTE_PGM_RSRC2:TRAP_HANDLER: 0
; COMPUTE_PGM_RSRC2:TGID_X_EN: 1
; COMPUTE_PGM_RSRC2:TGID_Y_EN: 0
; COMPUTE_PGM_RSRC2:TGID_Z_EN: 0
; COMPUTE_PGM_RSRC2:TIDIG_COMP_CNT: 1
	.section	.text._ZN9rocsparseL10bsr_gatherILj64ELj4ELj8Ei21rocsparse_complex_numIfEEEv20rocsparse_direction_T2_PKS4_PKT3_PS7_S4_,"axG",@progbits,_ZN9rocsparseL10bsr_gatherILj64ELj4ELj8Ei21rocsparse_complex_numIfEEEv20rocsparse_direction_T2_PKS4_PKT3_PS7_S4_,comdat
	.globl	_ZN9rocsparseL10bsr_gatherILj64ELj4ELj8Ei21rocsparse_complex_numIfEEEv20rocsparse_direction_T2_PKS4_PKT3_PS7_S4_ ; -- Begin function _ZN9rocsparseL10bsr_gatherILj64ELj4ELj8Ei21rocsparse_complex_numIfEEEv20rocsparse_direction_T2_PKS4_PKT3_PS7_S4_
	.p2align	8
	.type	_ZN9rocsparseL10bsr_gatherILj64ELj4ELj8Ei21rocsparse_complex_numIfEEEv20rocsparse_direction_T2_PKS4_PKT3_PS7_S4_,@function
_ZN9rocsparseL10bsr_gatherILj64ELj4ELj8Ei21rocsparse_complex_numIfEEEv20rocsparse_direction_T2_PKS4_PKT3_PS7_S4_: ; @_ZN9rocsparseL10bsr_gatherILj64ELj4ELj8Ei21rocsparse_complex_numIfEEEv20rocsparse_direction_T2_PKS4_PKT3_PS7_S4_
; %bb.0:
	s_load_b64 s[8:9], s[0:1], 0x0
	s_bfe_u32 s2, ttmp6, 0x4000c
	s_and_b32 s3, ttmp6, 15
	s_add_co_i32 s2, s2, 1
	v_bfe_u32 v1, v0, 10, 10
	s_mul_i32 s2, ttmp9, s2
	s_delay_alu instid0(SALU_CYCLE_1) | instskip(SKIP_1) | instid1(SALU_CYCLE_1)
	s_add_co_i32 s3, s3, s2
	s_getreg_b32 s2, hwreg(HW_REG_IB_STS2, 6, 4)
	s_cmp_eq_u32 s2, 0
	s_cselect_b32 s2, ttmp9, s3
	s_delay_alu instid0(SALU_CYCLE_1) | instskip(SKIP_2) | instid1(VALU_DEP_1)
	v_lshl_add_u32 v2, s2, 2, v1
	s_mov_b32 s2, exec_lo
	s_wait_kmcnt 0x0
	v_cmpx_gt_i32_e64 s9, v2
	s_cbranch_execz .LBB35_15
; %bb.1:
	s_load_b32 s9, s[0:1], 0x20
	v_and_b32_e32 v1, 7, v0
	s_wait_kmcnt 0x0
	s_delay_alu instid0(VALU_DEP_1)
	v_cmp_gt_i32_e32 vcc_lo, s9, v1
	s_and_b32 exec_lo, exec_lo, vcc_lo
	s_cbranch_execz .LBB35_15
; %bb.2:
	s_clause 0x1
	s_load_b128 s[4:7], s[0:1], 0x8
	s_load_b64 s[2:3], s[0:1], 0x18
	v_and_b32_e32 v0, 0x3ff, v0
	s_cmp_lg_u32 s8, 0
	s_wait_xcnt 0x0
	s_mov_b32 s1, 0
	s_delay_alu instid0(VALU_DEP_1) | instskip(NEXT) | instid1(VALU_DEP_1)
	v_lshrrev_b32_e32 v0, 3, v0
	v_cmp_gt_u32_e64 s0, s9, v0
	s_wait_kmcnt 0x0
	global_load_b32 v3, v2, s[4:5] scale_offset
	s_wait_xcnt 0x0
	v_mul_lo_u32 v2, s9, v2
	s_cselect_b32 s4, -1, 0
	s_lshl_b32 s5, s9, 3
	s_wait_loadcnt 0x0
	v_mul_lo_u32 v3, v3, s9
	s_delay_alu instid0(VALU_DEP_1) | instskip(NEXT) | instid1(VALU_DEP_1)
	v_dual_add_nc_u32 v4, v2, v1 :: v_dual_add_nc_u32 v5, v3, v1
	v_mul_lo_u32 v4, s9, v4
	s_delay_alu instid0(VALU_DEP_2)
	v_mul_lo_u32 v5, s9, v5
	s_branch .LBB35_4
.LBB35_3:                               ;   in Loop: Header=BB35_4 Depth=1
	s_or_b32 exec_lo, exec_lo, s8
	s_delay_alu instid0(VALU_DEP_2) | instskip(NEXT) | instid1(VALU_DEP_2)
	v_dual_add_nc_u32 v1, 8, v1 :: v_dual_add_nc_u32 v4, s5, v4
	v_add_nc_u32_e32 v5, s5, v5
	s_delay_alu instid0(VALU_DEP_2) | instskip(SKIP_1) | instid1(SALU_CYCLE_1)
	v_cmp_le_i32_e32 vcc_lo, s9, v1
	s_or_b32 s1, vcc_lo, s1
	s_and_not1_b32 exec_lo, exec_lo, s1
	s_cbranch_execz .LBB35_15
.LBB35_4:                               ; =>This Loop Header: Depth=1
                                        ;     Child Loop BB35_7 Depth 2
	s_and_saveexec_b32 s8, s0
	s_cbranch_execz .LBB35_3
; %bb.5:                                ;   in Loop: Header=BB35_4 Depth=1
	v_mov_b32_e32 v6, v0
	s_mov_b32 s10, 0
	s_branch .LBB35_7
.LBB35_6:                               ;   in Loop: Header=BB35_7 Depth=2
	global_load_b64 v[10:11], v7, s[6:7] scale_offset
	v_add_nc_u32_e32 v6, 8, v6
	s_delay_alu instid0(VALU_DEP_1)
	v_cmp_le_i32_e32 vcc_lo, s9, v6
	s_or_b32 s10, vcc_lo, s10
	s_wait_loadcnt 0x0
	global_store_b64 v8, v[10:11], s[2:3] scale_offset
	s_wait_xcnt 0x0
	s_and_not1_b32 exec_lo, exec_lo, s10
	s_cbranch_execz .LBB35_3
.LBB35_7:                               ;   Parent Loop BB35_4 Depth=1
                                        ; =>  This Inner Loop Header: Depth=2
	s_and_b32 vcc_lo, exec_lo, s4
	s_cbranch_vccz .LBB35_12
; %bb.8:                                ;   in Loop: Header=BB35_7 Depth=2
	s_delay_alu instid0(VALU_DEP_2)
	v_add_nc_u32_e32 v7, v5, v6
	s_cbranch_execnz .LBB35_10
.LBB35_9:                               ;   in Loop: Header=BB35_7 Depth=2
	v_add_nc_u32_e32 v7, v6, v3
	s_delay_alu instid0(VALU_DEP_1)
	v_mad_u32 v7, v7, s9, v1
.LBB35_10:                              ;   in Loop: Header=BB35_7 Depth=2
	s_and_b32 vcc_lo, exec_lo, s4
	s_cbranch_vccz .LBB35_13
; %bb.11:                               ;   in Loop: Header=BB35_7 Depth=2
	v_add_nc_u32_e32 v8, v6, v2
	s_delay_alu instid0(VALU_DEP_1)
	v_mad_u32 v8, v8, s9, v1
	s_cbranch_execnz .LBB35_6
	s_branch .LBB35_14
.LBB35_12:                              ;   in Loop: Header=BB35_7 Depth=2
                                        ; implicit-def: $vgpr7
	s_branch .LBB35_9
.LBB35_13:                              ;   in Loop: Header=BB35_7 Depth=2
                                        ; implicit-def: $vgpr8
.LBB35_14:                              ;   in Loop: Header=BB35_7 Depth=2
	v_add_nc_u32_e32 v8, v4, v6
	s_branch .LBB35_6
.LBB35_15:
	s_endpgm
	.section	.rodata,"a",@progbits
	.p2align	6, 0x0
	.amdhsa_kernel _ZN9rocsparseL10bsr_gatherILj64ELj4ELj8Ei21rocsparse_complex_numIfEEEv20rocsparse_direction_T2_PKS4_PKT3_PS7_S4_
		.amdhsa_group_segment_fixed_size 0
		.amdhsa_private_segment_fixed_size 0
		.amdhsa_kernarg_size 36
		.amdhsa_user_sgpr_count 2
		.amdhsa_user_sgpr_dispatch_ptr 0
		.amdhsa_user_sgpr_queue_ptr 0
		.amdhsa_user_sgpr_kernarg_segment_ptr 1
		.amdhsa_user_sgpr_dispatch_id 0
		.amdhsa_user_sgpr_kernarg_preload_length 0
		.amdhsa_user_sgpr_kernarg_preload_offset 0
		.amdhsa_user_sgpr_private_segment_size 0
		.amdhsa_wavefront_size32 1
		.amdhsa_uses_dynamic_stack 0
		.amdhsa_enable_private_segment 0
		.amdhsa_system_sgpr_workgroup_id_x 1
		.amdhsa_system_sgpr_workgroup_id_y 0
		.amdhsa_system_sgpr_workgroup_id_z 0
		.amdhsa_system_sgpr_workgroup_info 0
		.amdhsa_system_vgpr_workitem_id 1
		.amdhsa_next_free_vgpr 12
		.amdhsa_next_free_sgpr 11
		.amdhsa_named_barrier_count 0
		.amdhsa_reserve_vcc 1
		.amdhsa_float_round_mode_32 0
		.amdhsa_float_round_mode_16_64 0
		.amdhsa_float_denorm_mode_32 3
		.amdhsa_float_denorm_mode_16_64 3
		.amdhsa_fp16_overflow 0
		.amdhsa_memory_ordered 1
		.amdhsa_forward_progress 1
		.amdhsa_inst_pref_size 4
		.amdhsa_round_robin_scheduling 0
		.amdhsa_exception_fp_ieee_invalid_op 0
		.amdhsa_exception_fp_denorm_src 0
		.amdhsa_exception_fp_ieee_div_zero 0
		.amdhsa_exception_fp_ieee_overflow 0
		.amdhsa_exception_fp_ieee_underflow 0
		.amdhsa_exception_fp_ieee_inexact 0
		.amdhsa_exception_int_div_zero 0
	.end_amdhsa_kernel
	.section	.text._ZN9rocsparseL10bsr_gatherILj64ELj4ELj8Ei21rocsparse_complex_numIfEEEv20rocsparse_direction_T2_PKS4_PKT3_PS7_S4_,"axG",@progbits,_ZN9rocsparseL10bsr_gatherILj64ELj4ELj8Ei21rocsparse_complex_numIfEEEv20rocsparse_direction_T2_PKS4_PKT3_PS7_S4_,comdat
.Lfunc_end35:
	.size	_ZN9rocsparseL10bsr_gatherILj64ELj4ELj8Ei21rocsparse_complex_numIfEEEv20rocsparse_direction_T2_PKS4_PKT3_PS7_S4_, .Lfunc_end35-_ZN9rocsparseL10bsr_gatherILj64ELj4ELj8Ei21rocsparse_complex_numIfEEEv20rocsparse_direction_T2_PKS4_PKT3_PS7_S4_
                                        ; -- End function
	.set _ZN9rocsparseL10bsr_gatherILj64ELj4ELj8Ei21rocsparse_complex_numIfEEEv20rocsparse_direction_T2_PKS4_PKT3_PS7_S4_.num_vgpr, 12
	.set _ZN9rocsparseL10bsr_gatherILj64ELj4ELj8Ei21rocsparse_complex_numIfEEEv20rocsparse_direction_T2_PKS4_PKT3_PS7_S4_.num_agpr, 0
	.set _ZN9rocsparseL10bsr_gatherILj64ELj4ELj8Ei21rocsparse_complex_numIfEEEv20rocsparse_direction_T2_PKS4_PKT3_PS7_S4_.numbered_sgpr, 11
	.set _ZN9rocsparseL10bsr_gatherILj64ELj4ELj8Ei21rocsparse_complex_numIfEEEv20rocsparse_direction_T2_PKS4_PKT3_PS7_S4_.num_named_barrier, 0
	.set _ZN9rocsparseL10bsr_gatherILj64ELj4ELj8Ei21rocsparse_complex_numIfEEEv20rocsparse_direction_T2_PKS4_PKT3_PS7_S4_.private_seg_size, 0
	.set _ZN9rocsparseL10bsr_gatherILj64ELj4ELj8Ei21rocsparse_complex_numIfEEEv20rocsparse_direction_T2_PKS4_PKT3_PS7_S4_.uses_vcc, 1
	.set _ZN9rocsparseL10bsr_gatherILj64ELj4ELj8Ei21rocsparse_complex_numIfEEEv20rocsparse_direction_T2_PKS4_PKT3_PS7_S4_.uses_flat_scratch, 0
	.set _ZN9rocsparseL10bsr_gatherILj64ELj4ELj8Ei21rocsparse_complex_numIfEEEv20rocsparse_direction_T2_PKS4_PKT3_PS7_S4_.has_dyn_sized_stack, 0
	.set _ZN9rocsparseL10bsr_gatherILj64ELj4ELj8Ei21rocsparse_complex_numIfEEEv20rocsparse_direction_T2_PKS4_PKT3_PS7_S4_.has_recursion, 0
	.set _ZN9rocsparseL10bsr_gatherILj64ELj4ELj8Ei21rocsparse_complex_numIfEEEv20rocsparse_direction_T2_PKS4_PKT3_PS7_S4_.has_indirect_call, 0
	.section	.AMDGPU.csdata,"",@progbits
; Kernel info:
; codeLenInByte = 468
; TotalNumSgprs: 13
; NumVgprs: 12
; ScratchSize: 0
; MemoryBound: 0
; FloatMode: 240
; IeeeMode: 1
; LDSByteSize: 0 bytes/workgroup (compile time only)
; SGPRBlocks: 0
; VGPRBlocks: 0
; NumSGPRsForWavesPerEU: 13
; NumVGPRsForWavesPerEU: 12
; NamedBarCnt: 0
; Occupancy: 16
; WaveLimiterHint : 0
; COMPUTE_PGM_RSRC2:SCRATCH_EN: 0
; COMPUTE_PGM_RSRC2:USER_SGPR: 2
; COMPUTE_PGM_RSRC2:TRAP_HANDLER: 0
; COMPUTE_PGM_RSRC2:TGID_X_EN: 1
; COMPUTE_PGM_RSRC2:TGID_Y_EN: 0
; COMPUTE_PGM_RSRC2:TGID_Z_EN: 0
; COMPUTE_PGM_RSRC2:TIDIG_COMP_CNT: 1
	.section	.text._ZN9rocsparseL24bsrsm_upper_large_kernelILj256ELj16ELb1E21rocsparse_complex_numIfEEEviiPKiS4_PKT2_iPS5_iPiS4_S9_21rocsparse_index_base_20rocsparse_diag_type_20rocsparse_direction_,"axG",@progbits,_ZN9rocsparseL24bsrsm_upper_large_kernelILj256ELj16ELb1E21rocsparse_complex_numIfEEEviiPKiS4_PKT2_iPS5_iPiS4_S9_21rocsparse_index_base_20rocsparse_diag_type_20rocsparse_direction_,comdat
	.globl	_ZN9rocsparseL24bsrsm_upper_large_kernelILj256ELj16ELb1E21rocsparse_complex_numIfEEEviiPKiS4_PKT2_iPS5_iPiS4_S9_21rocsparse_index_base_20rocsparse_diag_type_20rocsparse_direction_ ; -- Begin function _ZN9rocsparseL24bsrsm_upper_large_kernelILj256ELj16ELb1E21rocsparse_complex_numIfEEEviiPKiS4_PKT2_iPS5_iPiS4_S9_21rocsparse_index_base_20rocsparse_diag_type_20rocsparse_direction_
	.p2align	8
	.type	_ZN9rocsparseL24bsrsm_upper_large_kernelILj256ELj16ELb1E21rocsparse_complex_numIfEEEviiPKiS4_PKT2_iPS5_iPiS4_S9_21rocsparse_index_base_20rocsparse_diag_type_20rocsparse_direction_,@function
_ZN9rocsparseL24bsrsm_upper_large_kernelILj256ELj16ELb1E21rocsparse_complex_numIfEEEviiPKiS4_PKT2_iPS5_iPiS4_S9_21rocsparse_index_base_20rocsparse_diag_type_20rocsparse_direction_: ; @_ZN9rocsparseL24bsrsm_upper_large_kernelILj256ELj16ELb1E21rocsparse_complex_numIfEEEviiPKiS4_PKT2_iPS5_iPiS4_S9_21rocsparse_index_base_20rocsparse_diag_type_20rocsparse_direction_
; %bb.0:
	s_clause 0x1
	s_load_b64 s[24:25], s[0:1], 0x0
	s_load_b128 s[8:11], s[0:1], 0x8
	s_bfe_u32 s4, ttmp6, 0x4000c
	s_and_b32 s3, ttmp6, 15
	s_add_co_i32 s4, s4, 1
	s_getreg_b32 s5, hwreg(HW_REG_IB_STS2, 6, 4)
	s_mul_i32 s4, ttmp9, s4
	v_dual_lshrrev_b32 v4, 4, v0 :: v_dual_bitop2_b32 v8, 15, v0 bitop3:0x40
	s_add_co_i32 s3, s3, s4
	s_wait_kmcnt 0x0
	s_cvt_f32_u32 s2, s24
	s_sub_co_i32 s6, 0, s24
	s_delay_alu instid0(SALU_CYCLE_2) | instskip(SKIP_1) | instid1(TRANS32_DEP_1)
	v_rcp_iflag_f32_e32 v1, s2
	v_nop
	v_readfirstlane_b32 s2, v1
	s_mul_f32 s2, s2, 0x4f7ffffe
	s_delay_alu instid0(SALU_CYCLE_3) | instskip(NEXT) | instid1(SALU_CYCLE_3)
	s_cvt_u32_f32 s2, s2
	s_mul_i32 s6, s6, s2
	s_delay_alu instid0(SALU_CYCLE_1) | instskip(NEXT) | instid1(SALU_CYCLE_1)
	s_mul_hi_u32 s6, s2, s6
	s_add_co_i32 s2, s2, s6
	s_cmp_eq_u32 s5, 0
	s_load_b128 s[4:7], s[0:1], 0x38
	s_cselect_b32 s3, ttmp9, s3
	s_delay_alu instid0(SALU_CYCLE_1) | instskip(NEXT) | instid1(SALU_CYCLE_1)
	s_mul_hi_u32 s2, s3, s2
	s_mul_i32 s12, s2, s24
	s_add_co_i32 s13, s2, 1
	s_sub_co_i32 s12, s3, s12
	s_delay_alu instid0(SALU_CYCLE_1)
	s_sub_co_i32 s14, s12, s24
	s_cmp_ge_u32 s12, s24
	s_cselect_b32 s2, s13, s2
	s_cselect_b32 s12, s14, s12
	s_add_co_i32 s13, s2, 1
	s_cmp_ge_u32 s12, s24
	s_cselect_b32 s19, s13, s2
	s_delay_alu instid0(SALU_CYCLE_1) | instskip(SKIP_4) | instid1(SALU_CYCLE_1)
	s_mul_i32 s15, s19, s24
	s_lshl_b32 s19, s19, 4
	s_sub_co_i32 s2, s3, s15
	v_or_b32_e32 v1, s19, v4
	s_ashr_i32 s3, s2, 31
	s_lshl_b64 s[12:13], s[2:3], 2
	s_load_b64 s[2:3], s[0:1], 0x48
	s_wait_kmcnt 0x0
	s_add_nc_u64 s[6:7], s[6:7], s[12:13]
	s_load_b96 s[12:14], s[0:1], 0x50
	v_cmp_gt_i32_e32 vcc_lo, s25, v1
	s_load_b32 s6, s[6:7], 0x0
	s_wait_kmcnt 0x0
	s_ashr_i32 s7, s6, 31
	s_delay_alu instid0(SALU_CYCLE_1) | instskip(NEXT) | instid1(SALU_CYCLE_1)
	s_lshl_b64 s[16:17], s[6:7], 2
	s_add_nc_u64 s[8:9], s[8:9], s[16:17]
	s_load_b64 s[26:27], s[8:9], 0x0
	s_clause 0x1
	s_load_b96 s[16:18], s[0:1], 0x18
	s_load_b96 s[20:22], s[0:1], 0x28
	s_wait_xcnt 0x0
	s_not_b32 s0, s12
	s_wait_kmcnt 0x0
	s_add_co_i32 s23, s27, s0
	v_cmp_eq_u32_e64 s0, 0, v0
	s_sub_co_i32 s26, s26, s12
	s_mul_i32 s7, s6, s18
	s_cmp_lt_i32 s23, s26
	s_cbranch_scc1 .LBB36_20
; %bb.1:
	v_mad_u32 v2, s18, s23, v8
	v_cmp_gt_i32_e64 s1, s18, v8
	v_mov_b32_e32 v6, 0
	s_cmp_lg_u32 s14, 0
	s_mul_i32 s29, s22, s18
	s_cselect_b32 s27, -1, 0
	s_and_b32 s1, vcc_lo, s1
	s_mul_i32 s30, s18, s18
	s_lshl_b32 s31, s18, 4
	v_mul_lo_u32 v5, s18, v2
	s_branch .LBB36_3
.LBB36_2:                               ;   in Loop: Header=BB36_3 Depth=1
                                        ; implicit-def: $vgpr5
	s_cbranch_execnz .LBB36_21
.LBB36_3:                               ; =>This Loop Header: Depth=1
                                        ;     Child Loop BB36_18 Depth 2
                                        ;       Child Loop BB36_19 Depth 3
                                        ;     Child Loop BB36_9 Depth 2
                                        ;       Child Loop BB36_11 Depth 3
	s_wait_xcnt 0x0
	v_mov_b32_e32 v2, s23
	global_load_b32 v2, v2, s[10:11] scale_offset
	s_wait_loadcnt 0x0
	v_readfirstlane_b32 s8, v2
	s_sub_co_i32 s28, s8, s12
	s_delay_alu instid0(SALU_CYCLE_1)
	s_cmp_le_i32 s28, s6
	s_cbranch_scc1 .LBB36_2
; %bb.4:                                ;   in Loop: Header=BB36_3 Depth=1
	s_wait_xcnt 0x0
	s_and_saveexec_b32 s33, s0
	s_cbranch_execz .LBB36_6
; %bb.5:                                ;   in Loop: Header=BB36_3 Depth=1
	s_add_co_i32 s8, s28, s15
	s_delay_alu instid0(SALU_CYCLE_1)
	v_mov_b32_e32 v2, s8
	global_load_b32 v2, v2, s[4:5] scale_offset scope:SCOPE_DEV
	s_wait_loadcnt 0x0
	v_cmp_ne_u32_e32 vcc_lo, 0, v2
	s_cbranch_vccz .LBB36_16
.LBB36_6:                               ;   in Loop: Header=BB36_3 Depth=1
	s_wait_xcnt 0x0
	s_or_b32 exec_lo, exec_lo, s33
	global_wb scope:SCOPE_DEV
	s_wait_storecnt 0x0
	global_inv scope:SCOPE_DEV
	s_wait_loadcnt 0x0
	s_barrier_signal -1
	s_barrier_wait -1
	s_and_saveexec_b32 s8, s1
	s_cbranch_execz .LBB36_15
; %bb.7:                                ;   in Loop: Header=BB36_3 Depth=1
	v_mad_u32 v7, s29, s28, v1
	v_dual_mov_b32 v9, v5 :: v_dual_mov_b32 v10, v8
	s_mul_i32 s9, s23, s18
	s_mov_b32 s33, 0
	s_branch .LBB36_9
.LBB36_8:                               ;   in Loop: Header=BB36_9 Depth=2
	v_dual_add_nc_u32 v11, s7, v10 :: v_dual_add_nc_u32 v10, 16, v10
	v_add_nc_u32_e32 v9, s31, v9
	s_delay_alu instid0(VALU_DEP_2) | instskip(NEXT) | instid1(VALU_DEP_3)
	v_mad_u32 v11, v11, s22, v1
	v_cmp_le_i32_e32 vcc_lo, s18, v10
	s_or_b32 s33, vcc_lo, s33
	global_load_b64 v[12:13], v11, s[20:21] scale_offset
	s_wait_loadcnt 0x0
	v_pk_add_f32 v[2:3], v[12:13], v[2:3] neg_lo:[0,1] neg_hi:[0,1]
	global_store_b64 v11, v[2:3], s[20:21] scale_offset
	s_wait_xcnt 0x0
	s_and_not1_b32 exec_lo, exec_lo, s33
	s_cbranch_execz .LBB36_15
.LBB36_9:                               ;   Parent Loop BB36_3 Depth=1
                                        ; =>  This Loop Header: Depth=2
                                        ;       Child Loop BB36_11 Depth 3
	s_delay_alu instid0(VALU_DEP_2) | instskip(SKIP_1) | instid1(VALU_DEP_1)
	v_dual_mov_b32 v2, 0 :: v_dual_mov_b32 v11, v7
	s_mov_b32 s34, 0
	v_mov_b32_e32 v3, v2
	s_branch .LBB36_11
.LBB36_10:                              ;   in Loop: Header=BB36_11 Depth=3
	global_load_b64 v[14:15], v11, s[20:21] scale_offset
	global_load_b64 v[16:17], v12, s[16:17] scale_offset
	s_wait_xcnt 0x1
	v_add_nc_u32_e32 v11, s22, v11
	s_add_co_i32 s34, s34, 1
	s_delay_alu instid0(SALU_CYCLE_1) | instskip(SKIP_2) | instid1(VALU_DEP_1)
	s_cmp_eq_u32 s18, s34
	s_wait_loadcnt 0x0
	v_pk_fma_f32 v[2:3], v[16:17], v[14:15], v[2:3] op_sel_hi:[1,0,1]
	v_pk_fma_f32 v[2:3], v[16:17], v[14:15], v[2:3] op_sel:[1,1,0] op_sel_hi:[0,1,1] neg_lo:[1,0,0]
	s_cbranch_scc1 .LBB36_8
.LBB36_11:                              ;   Parent Loop BB36_3 Depth=1
                                        ;     Parent Loop BB36_9 Depth=2
                                        ; =>    This Inner Loop Header: Depth=3
	s_and_b32 vcc_lo, exec_lo, s27
	s_cbranch_vccz .LBB36_13
; %bb.12:                               ;   in Loop: Header=BB36_11 Depth=3
	s_add_co_i32 s35, s34, s9
	s_wait_xcnt 0x0
	v_mad_u32 v12, s35, s18, v10
	s_cbranch_execnz .LBB36_10
	s_branch .LBB36_14
.LBB36_13:                              ;   in Loop: Header=BB36_11 Depth=3
                                        ; implicit-def: $vgpr12
.LBB36_14:                              ;   in Loop: Header=BB36_11 Depth=3
	s_wait_xcnt 0x0
	v_add_nc_u32_e32 v12, s34, v9
	s_branch .LBB36_10
.LBB36_15:                              ;   in Loop: Header=BB36_3 Depth=1
	s_or_b32 exec_lo, exec_lo, s8
	s_add_co_i32 s9, s23, -1
	s_cmp_le_i32 s23, s26
	v_subrev_nc_u32_e32 v5, s30, v5
	s_cselect_b32 s8, -1, 0
	s_mov_b32 s23, s9
	s_and_b32 vcc_lo, exec_lo, s8
	s_cbranch_vccz .LBB36_3
	s_branch .LBB36_21
.LBB36_16:                              ;   in Loop: Header=BB36_3 Depth=1
	s_ashr_i32 s9, s8, 31
	s_mov_b32 s34, 0
	s_lshl_b64 s[8:9], s[8:9], 2
	s_delay_alu instid0(SALU_CYCLE_1)
	s_add_nc_u64 s[8:9], s[4:5], s[8:9]
	s_branch .LBB36_18
.LBB36_17:                              ;   in Loop: Header=BB36_18 Depth=2
	global_load_b32 v2, v6, s[8:9] scope:SCOPE_DEV
	s_cmp_lt_u32 s34, 0xf43
	s_cselect_b32 s35, -1, 0
	s_delay_alu instid0(SALU_CYCLE_1)
	s_cmp_lg_u32 s35, 0
	s_add_co_ci_u32 s34, s34, 0
	s_wait_loadcnt 0x0
	v_cmp_ne_u32_e32 vcc_lo, 0, v2
	s_cbranch_vccnz .LBB36_6
.LBB36_18:                              ;   Parent Loop BB36_3 Depth=1
                                        ; =>  This Loop Header: Depth=2
                                        ;       Child Loop BB36_19 Depth 3
	s_cmp_eq_u32 s34, 0
	s_mov_b32 s35, s34
	s_cbranch_scc1 .LBB36_17
.LBB36_19:                              ;   Parent Loop BB36_3 Depth=1
                                        ;     Parent Loop BB36_18 Depth=2
                                        ; =>    This Inner Loop Header: Depth=3
	s_add_co_i32 s35, s35, -1
	s_sleep 1
	s_cmp_eq_u32 s35, 0
	s_cbranch_scc0 .LBB36_19
	s_branch .LBB36_17
.LBB36_20:
	s_mov_b32 s28, s24
.LBB36_21:
	s_cmp_lt_i32 s6, s24
	v_cmp_gt_i32_e32 vcc_lo, s25, v1
	s_cselect_b32 s1, -1, 0
	s_cmp_eq_u32 s6, s28
	s_cselect_b32 s0, -1, 0
	s_delay_alu instid0(SALU_CYCLE_1) | instskip(SKIP_2) | instid1(SALU_CYCLE_1)
	s_and_b32 s0, vcc_lo, s0
	s_cmp_gt_i32 s18, 0
	s_cselect_b32 s8, -1, 0
	s_and_b32 s8, s0, s8
	s_mov_b32 s0, 0
	s_and_b32 s9, s8, s1
	s_wait_xcnt 0x0
	s_and_saveexec_b32 s8, s9
	s_cbranch_execz .LBB36_38
; %bb.22:
	v_add_nc_u32_e32 v2, s7, v8
	s_cmp_eq_u32 s13, 0
	s_mov_b32 s11, 0
	s_cselect_b32 s9, -1, 0
	s_cmp_lg_u32 s14, 0
	v_mul_lo_u32 v2, s22, v2
	s_cselect_b32 s10, -1, 0
	s_add_co_i32 s0, s23, 1
	s_mul_i32 s13, s23, s18
	s_mul_i32 s0, s18, s0
	s_lshl_b32 s14, s22, 4
	s_add_co_i32 s0, s0, -1
	s_mov_b32 s23, s18
	s_delay_alu instid0(VALU_DEP_1)
	v_add3_u32 v9, v4, v2, s19
	s_mul_i32 s19, s18, s0
	s_and_not1_b32 vcc_lo, exec_lo, s9
	s_add_co_i32 s24, s23, -1
	s_cbranch_vccz .LBB36_24
.LBB36_23:
	v_dual_mov_b32 v4, 1.0 :: v_dual_mov_b32 v5, 0
	s_branch .LBB36_25
.LBB36_24:
	s_add_co_i32 s0, s24, s13
	s_delay_alu instid0(SALU_CYCLE_1) | instskip(NEXT) | instid1(SALU_CYCLE_1)
	s_mul_i32 s0, s0, s18
	s_add_co_i32 s0, s0, s24
	s_wait_loadcnt 0x0
	v_mov_b32_e32 v2, s0
	global_load_b64 v[4:5], v2, s[16:17] scale_offset
.LBB36_25:
	s_add_co_i32 s0, s24, s7
	s_wait_loadcnt 0x0
	s_delay_alu instid0(VALU_DEP_1) | instskip(SKIP_3) | instid1(SALU_CYCLE_1)
	v_cmp_eq_f32_e32 vcc_lo, 0, v4
	v_mad_u32 v6, s0, s22, v1
	v_cmp_eq_f32_e64 s0, 0, v5
	s_and_b32 s0, vcc_lo, s0
	s_and_b32 vcc_lo, exec_lo, s0
	global_load_b64 v[2:3], v6, s[20:21] scale_offset
	s_cbranch_vccnz .LBB36_27
; %bb.26:
	v_mul_f32_e32 v12, v5, v5
	s_delay_alu instid0(VALU_DEP_1) | instskip(NEXT) | instid1(VALU_DEP_1)
	v_fmac_f32_e32 v12, v4, v4
	v_div_scale_f32 v7, null, v12, v12, 1.0
	v_div_scale_f32 v13, vcc_lo, 1.0, v12, 1.0
	s_delay_alu instid0(VALU_DEP_2)
	v_rcp_f32_e32 v11, v7
	v_nop
	v_xor_b32_e32 v7, 0x80000000, v7
	s_delay_alu instid0(TRANS32_DEP_1) | instid1(VALU_DEP_1)
	v_fma_f32 v10, v7, v11, 1.0
	s_delay_alu instid0(VALU_DEP_1) | instskip(NEXT) | instid1(VALU_DEP_1)
	v_fmac_f32_e32 v11, v10, v11
	v_mul_f32_e32 v14, v13, v11
	s_delay_alu instid0(VALU_DEP_1) | instskip(NEXT) | instid1(VALU_DEP_1)
	v_fma_f32 v10, v7, v14, v13
	v_dual_fmac_f32 v14, v10, v11 :: v_dual_mov_b32 v10, v5
	s_delay_alu instid0(VALU_DEP_1) | instskip(SKIP_1) | instid1(VALU_DEP_2)
	v_fmac_f32_e32 v13, v7, v14
	v_ashrrev_i32_e32 v7, 31, v6
	v_div_fmas_f32 v5, v13, v11, v14
	s_wait_loadcnt 0x0
	v_pk_mul_f32 v[10:11], v[10:11], v[2:3] op_sel:[0,1] op_sel_hi:[0,0] neg_hi:[0,1]
	s_delay_alu instid0(VALU_DEP_2) | instskip(NEXT) | instid1(VALU_DEP_2)
	v_div_fixup_f32 v12, v5, v12, 1.0
	v_pk_fma_f32 v[2:3], v[2:3], v[4:5], v[10:11] op_sel_hi:[1,0,1]
	v_lshl_add_u64 v[4:5], v[6:7], 3, s[20:21]
	s_delay_alu instid0(VALU_DEP_2)
	v_pk_mul_f32 v[2:3], v[12:13], v[2:3] op_sel_hi:[0,1]
	global_store_b64 v[4:5], v[2:3], off
	s_mov_b32 s0, exec_lo
	s_wait_xcnt 0x0
	v_cmpx_gt_i32_e64 s24, v8
	s_cbranch_execnz .LBB36_28
	s_branch .LBB36_34
.LBB36_27:
	s_mov_b32 s11, -1
	s_mov_b32 s0, exec_lo
	s_wait_xcnt 0x0
	v_cmpx_gt_i32_e64 s24, v8
	s_cbranch_execz .LBB36_34
.LBB36_28:
	s_wait_loadcnt 0x0
	v_xor_b32_e32 v4, 0x80000000, v3
	v_dual_mov_b32 v5, v2 :: v_dual_mov_b32 v6, v9
	v_mov_b32_e32 v7, v8
	s_mov_b32 s25, 0
	s_branch .LBB36_30
.LBB36_29:                              ;   in Loop: Header=BB36_30 Depth=1
	global_load_b64 v[12:13], v10, s[16:17] scale_offset
	global_load_b64 v[14:15], v6, s[20:21] scale_offset
	v_add_nc_u32_e32 v7, 16, v7
	s_wait_loadcnt 0x1
	s_wait_xcnt 0x1
	v_pk_mul_f32 v[10:11], v[12:13], v[4:5] op_sel:[1,0]
	s_delay_alu instid0(VALU_DEP_1) | instskip(SKIP_1) | instid1(VALU_DEP_1)
	v_pk_fma_f32 v[10:11], v[2:3], v[12:13], v[10:11] op_sel_hi:[1,0,1]
	s_wait_loadcnt 0x0
	v_pk_add_f32 v[10:11], v[14:15], v[10:11] neg_lo:[0,1] neg_hi:[0,1]
	global_store_b64 v6, v[10:11], s[20:21] scale_offset
	s_wait_xcnt 0x0
	v_add_nc_u32_e32 v6, s14, v6
	v_cmp_le_i32_e32 vcc_lo, s24, v7
	s_or_b32 s25, vcc_lo, s25
	s_delay_alu instid0(SALU_CYCLE_1)
	s_and_not1_b32 exec_lo, exec_lo, s25
	s_cbranch_execz .LBB36_34
.LBB36_30:                              ; =>This Inner Loop Header: Depth=1
	s_and_b32 vcc_lo, exec_lo, s10
	s_cbranch_vccz .LBB36_32
; %bb.31:                               ;   in Loop: Header=BB36_30 Depth=1
	v_add_nc_u32_e32 v10, s19, v7
	s_cbranch_execnz .LBB36_29
	s_branch .LBB36_33
.LBB36_32:                              ;   in Loop: Header=BB36_30 Depth=1
                                        ; implicit-def: $vgpr10
.LBB36_33:                              ;   in Loop: Header=BB36_30 Depth=1
	v_add_nc_u32_e32 v10, s13, v7
	s_delay_alu instid0(VALU_DEP_1)
	v_mad_u32 v10, v10, s18, s24
	s_branch .LBB36_29
.LBB36_34:
	s_or_b32 exec_lo, exec_lo, s0
; %bb.35:
	s_sub_co_i32 s19, s19, s18
	s_cmp_lt_i32 s23, 2
	s_cbranch_scc1 .LBB36_37
; %bb.36:
	s_mov_b32 s23, s24
	s_and_not1_b32 vcc_lo, exec_lo, s9
	s_add_co_i32 s24, s23, -1
	s_cbranch_vccnz .LBB36_23
	s_branch .LBB36_24
.LBB36_37:
	s_and_b32 s0, s11, exec_lo
.LBB36_38:
	s_or_b32 exec_lo, exec_lo, s8
	v_cmp_eq_u32_e32 vcc_lo, 0, v0
	global_wb scope:SCOPE_DEV
	s_wait_loadcnt 0x0
	s_wait_storecnt 0x0
	global_inv scope:SCOPE_DEV
	s_wait_loadcnt 0x0
	s_barrier_signal -1
	s_barrier_wait -1
	s_and_b32 s1, vcc_lo, s1
	s_delay_alu instid0(SALU_CYCLE_1)
	s_and_saveexec_b32 s7, s1
	s_cbranch_execz .LBB36_42
; %bb.39:
	s_add_co_i32 s1, s6, s15
	s_delay_alu instid0(SALU_CYCLE_1)
	v_dual_mov_b32 v0, 1 :: v_dual_mov_b32 v1, s1
	global_store_b32 v1, v0, s[4:5] scale_offset scope:SCOPE_DEV
	s_wait_xcnt 0x0
	s_and_b32 exec_lo, exec_lo, s0
	s_cbranch_execz .LBB36_42
; %bb.40:
	v_mbcnt_lo_u32_b32 v0, exec_lo, 0
	s_delay_alu instid0(VALU_DEP_1)
	v_cmp_eq_u32_e32 vcc_lo, 0, v0
	s_and_b32 exec_lo, exec_lo, vcc_lo
	s_cbranch_execz .LBB36_42
; %bb.41:
	s_add_co_i32 s0, s6, s12
	s_delay_alu instid0(SALU_CYCLE_1)
	v_dual_mov_b32 v0, 0 :: v_dual_mov_b32 v1, s0
	global_atomic_min_i32 v0, v1, s[2:3] scope:SCOPE_DEV
.LBB36_42:
	s_endpgm
	.section	.rodata,"a",@progbits
	.p2align	6, 0x0
	.amdhsa_kernel _ZN9rocsparseL24bsrsm_upper_large_kernelILj256ELj16ELb1E21rocsparse_complex_numIfEEEviiPKiS4_PKT2_iPS5_iPiS4_S9_21rocsparse_index_base_20rocsparse_diag_type_20rocsparse_direction_
		.amdhsa_group_segment_fixed_size 0
		.amdhsa_private_segment_fixed_size 0
		.amdhsa_kernarg_size 92
		.amdhsa_user_sgpr_count 2
		.amdhsa_user_sgpr_dispatch_ptr 0
		.amdhsa_user_sgpr_queue_ptr 0
		.amdhsa_user_sgpr_kernarg_segment_ptr 1
		.amdhsa_user_sgpr_dispatch_id 0
		.amdhsa_user_sgpr_kernarg_preload_length 0
		.amdhsa_user_sgpr_kernarg_preload_offset 0
		.amdhsa_user_sgpr_private_segment_size 0
		.amdhsa_wavefront_size32 1
		.amdhsa_uses_dynamic_stack 0
		.amdhsa_enable_private_segment 0
		.amdhsa_system_sgpr_workgroup_id_x 1
		.amdhsa_system_sgpr_workgroup_id_y 0
		.amdhsa_system_sgpr_workgroup_id_z 0
		.amdhsa_system_sgpr_workgroup_info 0
		.amdhsa_system_vgpr_workitem_id 0
		.amdhsa_next_free_vgpr 18
		.amdhsa_next_free_sgpr 36
		.amdhsa_named_barrier_count 0
		.amdhsa_reserve_vcc 1
		.amdhsa_float_round_mode_32 0
		.amdhsa_float_round_mode_16_64 0
		.amdhsa_float_denorm_mode_32 3
		.amdhsa_float_denorm_mode_16_64 3
		.amdhsa_fp16_overflow 0
		.amdhsa_memory_ordered 1
		.amdhsa_forward_progress 1
		.amdhsa_inst_pref_size 15
		.amdhsa_round_robin_scheduling 0
		.amdhsa_exception_fp_ieee_invalid_op 0
		.amdhsa_exception_fp_denorm_src 0
		.amdhsa_exception_fp_ieee_div_zero 0
		.amdhsa_exception_fp_ieee_overflow 0
		.amdhsa_exception_fp_ieee_underflow 0
		.amdhsa_exception_fp_ieee_inexact 0
		.amdhsa_exception_int_div_zero 0
	.end_amdhsa_kernel
	.section	.text._ZN9rocsparseL24bsrsm_upper_large_kernelILj256ELj16ELb1E21rocsparse_complex_numIfEEEviiPKiS4_PKT2_iPS5_iPiS4_S9_21rocsparse_index_base_20rocsparse_diag_type_20rocsparse_direction_,"axG",@progbits,_ZN9rocsparseL24bsrsm_upper_large_kernelILj256ELj16ELb1E21rocsparse_complex_numIfEEEviiPKiS4_PKT2_iPS5_iPiS4_S9_21rocsparse_index_base_20rocsparse_diag_type_20rocsparse_direction_,comdat
.Lfunc_end36:
	.size	_ZN9rocsparseL24bsrsm_upper_large_kernelILj256ELj16ELb1E21rocsparse_complex_numIfEEEviiPKiS4_PKT2_iPS5_iPiS4_S9_21rocsparse_index_base_20rocsparse_diag_type_20rocsparse_direction_, .Lfunc_end36-_ZN9rocsparseL24bsrsm_upper_large_kernelILj256ELj16ELb1E21rocsparse_complex_numIfEEEviiPKiS4_PKT2_iPS5_iPiS4_S9_21rocsparse_index_base_20rocsparse_diag_type_20rocsparse_direction_
                                        ; -- End function
	.set _ZN9rocsparseL24bsrsm_upper_large_kernelILj256ELj16ELb1E21rocsparse_complex_numIfEEEviiPKiS4_PKT2_iPS5_iPiS4_S9_21rocsparse_index_base_20rocsparse_diag_type_20rocsparse_direction_.num_vgpr, 18
	.set _ZN9rocsparseL24bsrsm_upper_large_kernelILj256ELj16ELb1E21rocsparse_complex_numIfEEEviiPKiS4_PKT2_iPS5_iPiS4_S9_21rocsparse_index_base_20rocsparse_diag_type_20rocsparse_direction_.num_agpr, 0
	.set _ZN9rocsparseL24bsrsm_upper_large_kernelILj256ELj16ELb1E21rocsparse_complex_numIfEEEviiPKiS4_PKT2_iPS5_iPiS4_S9_21rocsparse_index_base_20rocsparse_diag_type_20rocsparse_direction_.numbered_sgpr, 36
	.set _ZN9rocsparseL24bsrsm_upper_large_kernelILj256ELj16ELb1E21rocsparse_complex_numIfEEEviiPKiS4_PKT2_iPS5_iPiS4_S9_21rocsparse_index_base_20rocsparse_diag_type_20rocsparse_direction_.num_named_barrier, 0
	.set _ZN9rocsparseL24bsrsm_upper_large_kernelILj256ELj16ELb1E21rocsparse_complex_numIfEEEviiPKiS4_PKT2_iPS5_iPiS4_S9_21rocsparse_index_base_20rocsparse_diag_type_20rocsparse_direction_.private_seg_size, 0
	.set _ZN9rocsparseL24bsrsm_upper_large_kernelILj256ELj16ELb1E21rocsparse_complex_numIfEEEviiPKiS4_PKT2_iPS5_iPiS4_S9_21rocsparse_index_base_20rocsparse_diag_type_20rocsparse_direction_.uses_vcc, 1
	.set _ZN9rocsparseL24bsrsm_upper_large_kernelILj256ELj16ELb1E21rocsparse_complex_numIfEEEviiPKiS4_PKT2_iPS5_iPiS4_S9_21rocsparse_index_base_20rocsparse_diag_type_20rocsparse_direction_.uses_flat_scratch, 0
	.set _ZN9rocsparseL24bsrsm_upper_large_kernelILj256ELj16ELb1E21rocsparse_complex_numIfEEEviiPKiS4_PKT2_iPS5_iPiS4_S9_21rocsparse_index_base_20rocsparse_diag_type_20rocsparse_direction_.has_dyn_sized_stack, 0
	.set _ZN9rocsparseL24bsrsm_upper_large_kernelILj256ELj16ELb1E21rocsparse_complex_numIfEEEviiPKiS4_PKT2_iPS5_iPiS4_S9_21rocsparse_index_base_20rocsparse_diag_type_20rocsparse_direction_.has_recursion, 0
	.set _ZN9rocsparseL24bsrsm_upper_large_kernelILj256ELj16ELb1E21rocsparse_complex_numIfEEEviiPKiS4_PKT2_iPS5_iPiS4_S9_21rocsparse_index_base_20rocsparse_diag_type_20rocsparse_direction_.has_indirect_call, 0
	.section	.AMDGPU.csdata,"",@progbits
; Kernel info:
; codeLenInByte = 1800
; TotalNumSgprs: 38
; NumVgprs: 18
; ScratchSize: 0
; MemoryBound: 0
; FloatMode: 240
; IeeeMode: 1
; LDSByteSize: 0 bytes/workgroup (compile time only)
; SGPRBlocks: 0
; VGPRBlocks: 1
; NumSGPRsForWavesPerEU: 38
; NumVGPRsForWavesPerEU: 18
; NamedBarCnt: 0
; Occupancy: 16
; WaveLimiterHint : 1
; COMPUTE_PGM_RSRC2:SCRATCH_EN: 0
; COMPUTE_PGM_RSRC2:USER_SGPR: 2
; COMPUTE_PGM_RSRC2:TRAP_HANDLER: 0
; COMPUTE_PGM_RSRC2:TGID_X_EN: 1
; COMPUTE_PGM_RSRC2:TGID_Y_EN: 0
; COMPUTE_PGM_RSRC2:TGID_Z_EN: 0
; COMPUTE_PGM_RSRC2:TIDIG_COMP_CNT: 0
	.section	.text._ZN9rocsparseL24bsrsm_lower_large_kernelILj256ELj16ELb1E21rocsparse_complex_numIfEEEviiPKiS4_PKT2_iPS5_iPiS4_S9_21rocsparse_index_base_20rocsparse_diag_type_20rocsparse_direction_,"axG",@progbits,_ZN9rocsparseL24bsrsm_lower_large_kernelILj256ELj16ELb1E21rocsparse_complex_numIfEEEviiPKiS4_PKT2_iPS5_iPiS4_S9_21rocsparse_index_base_20rocsparse_diag_type_20rocsparse_direction_,comdat
	.globl	_ZN9rocsparseL24bsrsm_lower_large_kernelILj256ELj16ELb1E21rocsparse_complex_numIfEEEviiPKiS4_PKT2_iPS5_iPiS4_S9_21rocsparse_index_base_20rocsparse_diag_type_20rocsparse_direction_ ; -- Begin function _ZN9rocsparseL24bsrsm_lower_large_kernelILj256ELj16ELb1E21rocsparse_complex_numIfEEEviiPKiS4_PKT2_iPS5_iPiS4_S9_21rocsparse_index_base_20rocsparse_diag_type_20rocsparse_direction_
	.p2align	8
	.type	_ZN9rocsparseL24bsrsm_lower_large_kernelILj256ELj16ELb1E21rocsparse_complex_numIfEEEviiPKiS4_PKT2_iPS5_iPiS4_S9_21rocsparse_index_base_20rocsparse_diag_type_20rocsparse_direction_,@function
_ZN9rocsparseL24bsrsm_lower_large_kernelILj256ELj16ELb1E21rocsparse_complex_numIfEEEviiPKiS4_PKT2_iPS5_iPiS4_S9_21rocsparse_index_base_20rocsparse_diag_type_20rocsparse_direction_: ; @_ZN9rocsparseL24bsrsm_lower_large_kernelILj256ELj16ELb1E21rocsparse_complex_numIfEEEviiPKiS4_PKT2_iPS5_iPiS4_S9_21rocsparse_index_base_20rocsparse_diag_type_20rocsparse_direction_
; %bb.0:
	s_clause 0x1
	s_load_b64 s[24:25], s[0:1], 0x0
	s_load_b128 s[8:11], s[0:1], 0x8
	s_bfe_u32 s4, ttmp6, 0x4000c
	s_and_b32 s3, ttmp6, 15
	s_add_co_i32 s4, s4, 1
	s_getreg_b32 s5, hwreg(HW_REG_IB_STS2, 6, 4)
	s_mul_i32 s4, ttmp9, s4
	v_dual_lshrrev_b32 v4, 4, v0 :: v_dual_bitop2_b32 v5, 15, v0 bitop3:0x40
	s_add_co_i32 s3, s3, s4
	s_wait_kmcnt 0x0
	s_cvt_f32_u32 s2, s24
	s_sub_co_i32 s6, 0, s24
	s_delay_alu instid0(SALU_CYCLE_2) | instskip(SKIP_1) | instid1(TRANS32_DEP_1)
	v_rcp_iflag_f32_e32 v1, s2
	v_nop
	v_readfirstlane_b32 s2, v1
	s_mul_f32 s2, s2, 0x4f7ffffe
	s_delay_alu instid0(SALU_CYCLE_3) | instskip(NEXT) | instid1(SALU_CYCLE_3)
	s_cvt_u32_f32 s2, s2
	s_mul_i32 s6, s6, s2
	s_delay_alu instid0(SALU_CYCLE_1) | instskip(NEXT) | instid1(SALU_CYCLE_1)
	s_mul_hi_u32 s6, s2, s6
	s_add_co_i32 s2, s2, s6
	s_cmp_eq_u32 s5, 0
	s_load_b128 s[4:7], s[0:1], 0x38
	s_cselect_b32 s3, ttmp9, s3
	s_delay_alu instid0(SALU_CYCLE_1) | instskip(NEXT) | instid1(SALU_CYCLE_1)
	s_mul_hi_u32 s2, s3, s2
	s_mul_i32 s12, s2, s24
	s_add_co_i32 s13, s2, 1
	s_sub_co_i32 s12, s3, s12
	s_delay_alu instid0(SALU_CYCLE_1)
	s_sub_co_i32 s14, s12, s24
	s_cmp_ge_u32 s12, s24
	s_cselect_b32 s2, s13, s2
	s_cselect_b32 s12, s14, s12
	s_add_co_i32 s13, s2, 1
	s_cmp_ge_u32 s12, s24
	s_cselect_b32 s19, s13, s2
	s_delay_alu instid0(SALU_CYCLE_1) | instskip(SKIP_4) | instid1(SALU_CYCLE_1)
	s_mul_i32 s15, s19, s24
	s_lshl_b32 s19, s19, 4
	s_sub_co_i32 s2, s3, s15
	v_or_b32_e32 v1, s19, v4
	s_ashr_i32 s3, s2, 31
	s_lshl_b64 s[12:13], s[2:3], 2
	s_load_b64 s[2:3], s[0:1], 0x48
	s_wait_kmcnt 0x0
	s_add_nc_u64 s[6:7], s[6:7], s[12:13]
	v_cmp_gt_i32_e32 vcc_lo, s25, v1
	s_load_b32 s6, s[6:7], 0x0
	s_wait_kmcnt 0x0
	s_ashr_i32 s7, s6, 31
	s_delay_alu instid0(SALU_CYCLE_1) | instskip(NEXT) | instid1(SALU_CYCLE_1)
	s_lshl_b64 s[12:13], s[6:7], 2
	s_add_nc_u64 s[26:27], s[8:9], s[12:13]
	s_load_b96 s[12:14], s[0:1], 0x50
	s_load_b64 s[8:9], s[26:27], 0x0
	s_clause 0x1
	s_load_b96 s[16:18], s[0:1], 0x18
	s_load_b96 s[20:22], s[0:1], 0x28
	s_wait_xcnt 0x0
	v_cmp_eq_u32_e64 s0, 0, v0
	s_wait_kmcnt 0x0
	s_sub_co_i32 s23, s8, s12
	s_cmp_ge_i32 s8, s9
	s_mul_i32 s7, s6, s18
	s_mul_i32 s26, s18, s18
	s_cbranch_scc1 .LBB37_20
; %bb.1:
	v_mad_u32 v2, s18, s23, v5
	v_cmp_gt_i32_e64 s1, s18, v5
	s_sub_co_i32 s27, s9, s12
	v_mov_b32_e32 v7, 0
	s_cmp_lg_u32 s14, 0
	s_mul_i32 s30, s22, s18
	s_cselect_b32 s28, -1, 0
	s_and_b32 s1, vcc_lo, s1
	s_lshl_b32 s31, s18, 4
	v_mul_lo_u32 v6, s18, v2
	s_branch .LBB37_3
.LBB37_2:                               ;   in Loop: Header=BB37_3 Depth=1
                                        ; implicit-def: $vgpr6
	s_cbranch_execnz .LBB37_21
.LBB37_3:                               ; =>This Loop Header: Depth=1
                                        ;     Child Loop BB37_18 Depth 2
                                        ;       Child Loop BB37_19 Depth 3
                                        ;     Child Loop BB37_9 Depth 2
                                        ;       Child Loop BB37_11 Depth 3
	s_wait_xcnt 0x0
	v_mov_b32_e32 v2, s23
	global_load_b32 v2, v2, s[10:11] scale_offset
	s_wait_loadcnt 0x0
	v_readfirstlane_b32 s8, v2
	s_sub_co_i32 s29, s8, s12
	s_delay_alu instid0(SALU_CYCLE_1)
	s_cmp_ge_i32 s29, s6
	s_cbranch_scc1 .LBB37_2
; %bb.4:                                ;   in Loop: Header=BB37_3 Depth=1
	s_wait_xcnt 0x0
	s_and_saveexec_b32 s33, s0
	s_cbranch_execz .LBB37_6
; %bb.5:                                ;   in Loop: Header=BB37_3 Depth=1
	s_add_co_i32 s8, s29, s15
	s_delay_alu instid0(SALU_CYCLE_1)
	v_mov_b32_e32 v2, s8
	global_load_b32 v2, v2, s[4:5] scale_offset scope:SCOPE_DEV
	s_wait_loadcnt 0x0
	v_cmp_ne_u32_e32 vcc_lo, 0, v2
	s_cbranch_vccz .LBB37_16
.LBB37_6:                               ;   in Loop: Header=BB37_3 Depth=1
	s_wait_xcnt 0x0
	s_or_b32 exec_lo, exec_lo, s33
	global_wb scope:SCOPE_DEV
	s_wait_storecnt 0x0
	global_inv scope:SCOPE_DEV
	s_wait_loadcnt 0x0
	s_barrier_signal -1
	s_barrier_wait -1
	s_and_saveexec_b32 s8, s1
	s_cbranch_execz .LBB37_15
; %bb.7:                                ;   in Loop: Header=BB37_3 Depth=1
	v_mad_u32 v8, s30, s29, v1
	v_dual_mov_b32 v9, v6 :: v_dual_mov_b32 v10, v5
	s_mul_i32 s9, s23, s18
	s_mov_b32 s33, 0
	s_branch .LBB37_9
.LBB37_8:                               ;   in Loop: Header=BB37_9 Depth=2
	v_dual_add_nc_u32 v11, s7, v10 :: v_dual_add_nc_u32 v10, 16, v10
	v_add_nc_u32_e32 v9, s31, v9
	s_delay_alu instid0(VALU_DEP_2) | instskip(NEXT) | instid1(VALU_DEP_3)
	v_mad_u32 v11, v11, s22, v1
	v_cmp_le_i32_e32 vcc_lo, s18, v10
	s_or_b32 s33, vcc_lo, s33
	global_load_b64 v[12:13], v11, s[20:21] scale_offset
	s_wait_loadcnt 0x0
	v_pk_add_f32 v[2:3], v[12:13], v[2:3] neg_lo:[0,1] neg_hi:[0,1]
	global_store_b64 v11, v[2:3], s[20:21] scale_offset
	s_wait_xcnt 0x0
	s_and_not1_b32 exec_lo, exec_lo, s33
	s_cbranch_execz .LBB37_15
.LBB37_9:                               ;   Parent Loop BB37_3 Depth=1
                                        ; =>  This Loop Header: Depth=2
                                        ;       Child Loop BB37_11 Depth 3
	s_delay_alu instid0(VALU_DEP_2) | instskip(SKIP_1) | instid1(VALU_DEP_1)
	v_dual_mov_b32 v2, 0 :: v_dual_mov_b32 v11, v8
	s_mov_b32 s34, 0
	v_mov_b32_e32 v3, v2
	s_branch .LBB37_11
.LBB37_10:                              ;   in Loop: Header=BB37_11 Depth=3
	global_load_b64 v[14:15], v11, s[20:21] scale_offset
	global_load_b64 v[16:17], v12, s[16:17] scale_offset
	s_wait_xcnt 0x1
	v_add_nc_u32_e32 v11, s22, v11
	s_add_co_i32 s34, s34, 1
	s_delay_alu instid0(SALU_CYCLE_1) | instskip(SKIP_2) | instid1(VALU_DEP_1)
	s_cmp_eq_u32 s18, s34
	s_wait_loadcnt 0x0
	v_pk_fma_f32 v[2:3], v[16:17], v[14:15], v[2:3] op_sel_hi:[1,0,1]
	v_pk_fma_f32 v[2:3], v[16:17], v[14:15], v[2:3] op_sel:[1,1,0] op_sel_hi:[0,1,1] neg_lo:[1,0,0]
	s_cbranch_scc1 .LBB37_8
.LBB37_11:                              ;   Parent Loop BB37_3 Depth=1
                                        ;     Parent Loop BB37_9 Depth=2
                                        ; =>    This Inner Loop Header: Depth=3
	s_and_b32 vcc_lo, exec_lo, s28
	s_cbranch_vccz .LBB37_13
; %bb.12:                               ;   in Loop: Header=BB37_11 Depth=3
	s_add_co_i32 s35, s34, s9
	s_wait_xcnt 0x0
	v_mad_u32 v12, s35, s18, v10
	s_cbranch_execnz .LBB37_10
	s_branch .LBB37_14
.LBB37_13:                              ;   in Loop: Header=BB37_11 Depth=3
                                        ; implicit-def: $vgpr12
.LBB37_14:                              ;   in Loop: Header=BB37_11 Depth=3
	s_wait_xcnt 0x0
	v_add_nc_u32_e32 v12, s34, v9
	s_branch .LBB37_10
.LBB37_15:                              ;   in Loop: Header=BB37_3 Depth=1
	s_or_b32 exec_lo, exec_lo, s8
	s_add_co_i32 s23, s23, 1
	v_add_nc_u32_e32 v6, s26, v6
	s_cmp_ge_i32 s23, s27
	s_cselect_b32 s8, -1, 0
	s_delay_alu instid0(SALU_CYCLE_1)
	s_and_b32 vcc_lo, exec_lo, s8
	s_cbranch_vccz .LBB37_3
	s_branch .LBB37_21
.LBB37_16:                              ;   in Loop: Header=BB37_3 Depth=1
	s_ashr_i32 s9, s8, 31
	s_mov_b32 s34, 0
	s_lshl_b64 s[8:9], s[8:9], 2
	s_delay_alu instid0(SALU_CYCLE_1)
	s_add_nc_u64 s[8:9], s[4:5], s[8:9]
	s_branch .LBB37_18
.LBB37_17:                              ;   in Loop: Header=BB37_18 Depth=2
	global_load_b32 v2, v7, s[8:9] scope:SCOPE_DEV
	s_cmp_lt_u32 s34, 0xf43
	s_cselect_b32 s35, -1, 0
	s_delay_alu instid0(SALU_CYCLE_1)
	s_cmp_lg_u32 s35, 0
	s_add_co_ci_u32 s34, s34, 0
	s_wait_loadcnt 0x0
	v_cmp_ne_u32_e32 vcc_lo, 0, v2
	s_cbranch_vccnz .LBB37_6
.LBB37_18:                              ;   Parent Loop BB37_3 Depth=1
                                        ; =>  This Loop Header: Depth=2
                                        ;       Child Loop BB37_19 Depth 3
	s_cmp_eq_u32 s34, 0
	s_mov_b32 s35, s34
	s_cbranch_scc1 .LBB37_17
.LBB37_19:                              ;   Parent Loop BB37_3 Depth=1
                                        ;     Parent Loop BB37_18 Depth=2
                                        ; =>    This Inner Loop Header: Depth=3
	s_add_co_i32 s35, s35, -1
	s_sleep 1
	s_cmp_eq_u32 s35, 0
	s_cbranch_scc0 .LBB37_19
	s_branch .LBB37_17
.LBB37_20:
	s_mov_b32 s29, s24
.LBB37_21:
	s_cmp_lt_i32 s6, s24
	v_cmp_gt_i32_e32 vcc_lo, s25, v1
	s_cselect_b32 s1, -1, 0
	s_cmp_eq_u32 s6, s29
	s_cselect_b32 s0, -1, 0
	s_delay_alu instid0(SALU_CYCLE_1) | instskip(SKIP_2) | instid1(SALU_CYCLE_1)
	s_and_b32 s0, vcc_lo, s0
	s_cmp_gt_i32 s18, 0
	s_cselect_b32 s8, -1, 0
	s_and_b32 s8, s0, s8
	s_mov_b32 s0, 0
	s_and_b32 s9, s8, s1
	s_wait_xcnt 0x0
	s_and_saveexec_b32 s8, s9
	s_cbranch_execz .LBB37_37
; %bb.22:
	v_dual_add_nc_u32 v2, s7, v5 :: v_dual_add_nc_u32 v8, 1, v5
	s_cmp_eq_u32 s13, 0
	s_mov_b32 s9, 0
	s_cselect_b32 s10, -1, 0
	s_delay_alu instid0(VALU_DEP_1)
	v_mad_u32 v2, s22, v2, s22
	s_cmp_lg_u32 s14, 0
	s_mul_i32 s11, s23, s18
	s_cselect_b32 s13, -1, 0
	s_lshl_b32 s14, s22, 4
	s_mov_b32 s24, 0
	s_delay_alu instid0(VALU_DEP_1)
	v_add3_u32 v9, v4, v2, s19
	s_mul_i32 s19, s23, s26
	s_add_co_i32 s23, s18, 1
	s_branch .LBB37_24
.LBB37_23:                              ;   in Loop: Header=BB37_24 Depth=1
	s_or_b32 exec_lo, exec_lo, s0
	v_add_nc_u32_e32 v9, s22, v9
	s_add_co_i32 s9, s9, 1
	s_add_co_i32 s19, s19, s23
	s_cmp_eq_u32 s9, s18
	s_cbranch_scc1 .LBB37_36
.LBB37_24:                              ; =>This Loop Header: Depth=1
                                        ;     Child Loop BB37_32 Depth 2
	s_and_not1_b32 vcc_lo, exec_lo, s10
	s_cbranch_vccz .LBB37_26
; %bb.25:                               ;   in Loop: Header=BB37_24 Depth=1
	v_dual_mov_b32 v4, 1.0 :: v_dual_mov_b32 v5, 0
	s_branch .LBB37_27
.LBB37_26:                              ;   in Loop: Header=BB37_24 Depth=1
	s_add_co_i32 s0, s9, s11
	s_delay_alu instid0(SALU_CYCLE_1) | instskip(NEXT) | instid1(SALU_CYCLE_1)
	s_mul_i32 s0, s0, s18
	s_add_co_i32 s0, s0, s9
	s_wait_loadcnt 0x0
	v_mov_b32_e32 v2, s0
	global_load_b64 v[4:5], v2, s[16:17] scale_offset
.LBB37_27:                              ;   in Loop: Header=BB37_24 Depth=1
	s_add_co_i32 s0, s9, s7
	s_wait_loadcnt 0x0
	s_delay_alu instid0(VALU_DEP_1) | instskip(SKIP_3) | instid1(SALU_CYCLE_1)
	v_cmp_eq_f32_e32 vcc_lo, 0, v4
	v_mad_u32 v6, s0, s22, v1
	v_cmp_eq_f32_e64 s0, 0, v5
	s_and_b32 s0, vcc_lo, s0
	s_and_b32 vcc_lo, exec_lo, s0
	global_load_b64 v[2:3], v6, s[20:21] scale_offset
	s_cbranch_vccnz .LBB37_29
; %bb.28:                               ;   in Loop: Header=BB37_24 Depth=1
	v_mul_f32_e32 v12, v5, v5
	s_delay_alu instid0(VALU_DEP_1) | instskip(NEXT) | instid1(VALU_DEP_1)
	v_fmac_f32_e32 v12, v4, v4
	v_div_scale_f32 v7, null, v12, v12, 1.0
	v_div_scale_f32 v13, vcc_lo, 1.0, v12, 1.0
	s_delay_alu instid0(VALU_DEP_2)
	v_rcp_f32_e32 v11, v7
	v_nop
	v_xor_b32_e32 v7, 0x80000000, v7
	s_delay_alu instid0(TRANS32_DEP_1) | instid1(VALU_DEP_1)
	v_fma_f32 v10, v7, v11, 1.0
	s_delay_alu instid0(VALU_DEP_1) | instskip(NEXT) | instid1(VALU_DEP_1)
	v_fmac_f32_e32 v11, v10, v11
	v_mul_f32_e32 v14, v13, v11
	s_delay_alu instid0(VALU_DEP_1) | instskip(NEXT) | instid1(VALU_DEP_1)
	v_fma_f32 v10, v7, v14, v13
	v_dual_fmac_f32 v14, v10, v11 :: v_dual_mov_b32 v10, v5
	s_delay_alu instid0(VALU_DEP_1) | instskip(SKIP_1) | instid1(VALU_DEP_2)
	v_fmac_f32_e32 v13, v7, v14
	v_ashrrev_i32_e32 v7, 31, v6
	v_div_fmas_f32 v5, v13, v11, v14
	s_wait_loadcnt 0x0
	v_pk_mul_f32 v[10:11], v[10:11], v[2:3] op_sel:[0,1] op_sel_hi:[0,0] neg_hi:[0,1]
	s_delay_alu instid0(VALU_DEP_2) | instskip(NEXT) | instid1(VALU_DEP_2)
	v_div_fixup_f32 v12, v5, v12, 1.0
	v_pk_fma_f32 v[2:3], v[2:3], v[4:5], v[10:11] op_sel_hi:[1,0,1]
	v_lshl_add_u64 v[4:5], v[6:7], 3, s[20:21]
	s_delay_alu instid0(VALU_DEP_2)
	v_pk_mul_f32 v[2:3], v[12:13], v[2:3] op_sel_hi:[0,1]
	global_store_b64 v[4:5], v[2:3], off
	s_wait_xcnt 0x1
	v_add_nc_u32_e32 v6, s9, v8
	s_mov_b32 s0, exec_lo
	s_wait_xcnt 0x0
	s_delay_alu instid0(VALU_DEP_1)
	v_cmpx_gt_i32_e64 s18, v6
	s_cbranch_execz .LBB37_23
	s_branch .LBB37_30
.LBB37_29:                              ;   in Loop: Header=BB37_24 Depth=1
	s_mov_b32 s24, -1
	s_wait_xcnt 0x0
	v_add_nc_u32_e32 v6, s9, v8
	s_mov_b32 s0, exec_lo
	s_delay_alu instid0(VALU_DEP_1)
	v_cmpx_gt_i32_e64 s18, v6
	s_cbranch_execz .LBB37_23
.LBB37_30:                              ;   in Loop: Header=BB37_24 Depth=1
	s_wait_loadcnt 0x0
	v_xor_b32_e32 v4, 0x80000000, v3
	v_dual_mov_b32 v5, v2 :: v_dual_mov_b32 v7, v9
	v_mov_b32_e32 v10, v8
	s_mov_b32 s25, 0
	s_branch .LBB37_32
.LBB37_31:                              ;   in Loop: Header=BB37_32 Depth=2
	global_load_b64 v[12:13], v11, s[16:17] scale_offset
	global_load_b64 v[14:15], v7, s[20:21] scale_offset
	v_add_nc_u32_e32 v10, 16, v10
	v_add_nc_u32_e32 v6, 16, v6
	s_wait_loadcnt 0x1
	v_pk_mul_f32 v[16:17], v[12:13], v[4:5] op_sel:[1,0]
	s_delay_alu instid0(VALU_DEP_1) | instskip(SKIP_1) | instid1(VALU_DEP_1)
	v_pk_fma_f32 v[12:13], v[2:3], v[12:13], v[16:17] op_sel_hi:[1,0,1]
	s_wait_loadcnt 0x0
	v_pk_add_f32 v[12:13], v[14:15], v[12:13] neg_lo:[0,1] neg_hi:[0,1]
	global_store_b64 v7, v[12:13], s[20:21] scale_offset
	s_wait_xcnt 0x0
	v_dual_add_nc_u32 v7, s14, v7 :: v_dual_add_nc_u32 v11, s9, v10
	s_delay_alu instid0(VALU_DEP_1) | instskip(SKIP_1) | instid1(SALU_CYCLE_1)
	v_cmp_le_i32_e32 vcc_lo, s18, v11
	s_or_b32 s25, vcc_lo, s25
	s_and_not1_b32 exec_lo, exec_lo, s25
	s_cbranch_execz .LBB37_23
.LBB37_32:                              ;   Parent Loop BB37_24 Depth=1
                                        ; =>  This Inner Loop Header: Depth=2
	s_and_b32 vcc_lo, exec_lo, s13
	s_cbranch_vccz .LBB37_34
; %bb.33:                               ;   in Loop: Header=BB37_32 Depth=2
	v_add_nc_u32_e32 v11, s19, v10
	s_cbranch_execnz .LBB37_31
	s_branch .LBB37_35
.LBB37_34:                              ;   in Loop: Header=BB37_32 Depth=2
                                        ; implicit-def: $vgpr11
.LBB37_35:                              ;   in Loop: Header=BB37_32 Depth=2
	v_add_nc_u32_e32 v11, s11, v6
	s_delay_alu instid0(VALU_DEP_1)
	v_mad_u32 v11, v11, s18, s9
	s_branch .LBB37_31
.LBB37_36:
	s_and_b32 s0, s24, exec_lo
.LBB37_37:
	s_or_b32 exec_lo, exec_lo, s8
	v_cmp_eq_u32_e32 vcc_lo, 0, v0
	global_wb scope:SCOPE_DEV
	s_wait_loadcnt 0x0
	s_wait_storecnt 0x0
	global_inv scope:SCOPE_DEV
	s_wait_loadcnt 0x0
	s_barrier_signal -1
	s_barrier_wait -1
	s_and_b32 s1, vcc_lo, s1
	s_delay_alu instid0(SALU_CYCLE_1)
	s_and_saveexec_b32 s7, s1
	s_cbranch_execz .LBB37_41
; %bb.38:
	s_add_co_i32 s1, s6, s15
	s_delay_alu instid0(SALU_CYCLE_1)
	v_dual_mov_b32 v0, 1 :: v_dual_mov_b32 v1, s1
	global_store_b32 v1, v0, s[4:5] scale_offset scope:SCOPE_DEV
	s_wait_xcnt 0x0
	s_and_b32 exec_lo, exec_lo, s0
	s_cbranch_execz .LBB37_41
; %bb.39:
	v_mbcnt_lo_u32_b32 v0, exec_lo, 0
	s_delay_alu instid0(VALU_DEP_1)
	v_cmp_eq_u32_e32 vcc_lo, 0, v0
	s_and_b32 exec_lo, exec_lo, vcc_lo
	s_cbranch_execz .LBB37_41
; %bb.40:
	s_add_co_i32 s0, s6, s12
	s_delay_alu instid0(SALU_CYCLE_1)
	v_dual_mov_b32 v0, 0 :: v_dual_mov_b32 v1, s0
	global_atomic_min_i32 v0, v1, s[2:3] scope:SCOPE_DEV
.LBB37_41:
	s_endpgm
	.section	.rodata,"a",@progbits
	.p2align	6, 0x0
	.amdhsa_kernel _ZN9rocsparseL24bsrsm_lower_large_kernelILj256ELj16ELb1E21rocsparse_complex_numIfEEEviiPKiS4_PKT2_iPS5_iPiS4_S9_21rocsparse_index_base_20rocsparse_diag_type_20rocsparse_direction_
		.amdhsa_group_segment_fixed_size 0
		.amdhsa_private_segment_fixed_size 0
		.amdhsa_kernarg_size 92
		.amdhsa_user_sgpr_count 2
		.amdhsa_user_sgpr_dispatch_ptr 0
		.amdhsa_user_sgpr_queue_ptr 0
		.amdhsa_user_sgpr_kernarg_segment_ptr 1
		.amdhsa_user_sgpr_dispatch_id 0
		.amdhsa_user_sgpr_kernarg_preload_length 0
		.amdhsa_user_sgpr_kernarg_preload_offset 0
		.amdhsa_user_sgpr_private_segment_size 0
		.amdhsa_wavefront_size32 1
		.amdhsa_uses_dynamic_stack 0
		.amdhsa_enable_private_segment 0
		.amdhsa_system_sgpr_workgroup_id_x 1
		.amdhsa_system_sgpr_workgroup_id_y 0
		.amdhsa_system_sgpr_workgroup_id_z 0
		.amdhsa_system_sgpr_workgroup_info 0
		.amdhsa_system_vgpr_workitem_id 0
		.amdhsa_next_free_vgpr 18
		.amdhsa_next_free_sgpr 36
		.amdhsa_named_barrier_count 0
		.amdhsa_reserve_vcc 1
		.amdhsa_float_round_mode_32 0
		.amdhsa_float_round_mode_16_64 0
		.amdhsa_float_denorm_mode_32 3
		.amdhsa_float_denorm_mode_16_64 3
		.amdhsa_fp16_overflow 0
		.amdhsa_memory_ordered 1
		.amdhsa_forward_progress 1
		.amdhsa_inst_pref_size 15
		.amdhsa_round_robin_scheduling 0
		.amdhsa_exception_fp_ieee_invalid_op 0
		.amdhsa_exception_fp_denorm_src 0
		.amdhsa_exception_fp_ieee_div_zero 0
		.amdhsa_exception_fp_ieee_overflow 0
		.amdhsa_exception_fp_ieee_underflow 0
		.amdhsa_exception_fp_ieee_inexact 0
		.amdhsa_exception_int_div_zero 0
	.end_amdhsa_kernel
	.section	.text._ZN9rocsparseL24bsrsm_lower_large_kernelILj256ELj16ELb1E21rocsparse_complex_numIfEEEviiPKiS4_PKT2_iPS5_iPiS4_S9_21rocsparse_index_base_20rocsparse_diag_type_20rocsparse_direction_,"axG",@progbits,_ZN9rocsparseL24bsrsm_lower_large_kernelILj256ELj16ELb1E21rocsparse_complex_numIfEEEviiPKiS4_PKT2_iPS5_iPiS4_S9_21rocsparse_index_base_20rocsparse_diag_type_20rocsparse_direction_,comdat
.Lfunc_end37:
	.size	_ZN9rocsparseL24bsrsm_lower_large_kernelILj256ELj16ELb1E21rocsparse_complex_numIfEEEviiPKiS4_PKT2_iPS5_iPiS4_S9_21rocsparse_index_base_20rocsparse_diag_type_20rocsparse_direction_, .Lfunc_end37-_ZN9rocsparseL24bsrsm_lower_large_kernelILj256ELj16ELb1E21rocsparse_complex_numIfEEEviiPKiS4_PKT2_iPS5_iPiS4_S9_21rocsparse_index_base_20rocsparse_diag_type_20rocsparse_direction_
                                        ; -- End function
	.set _ZN9rocsparseL24bsrsm_lower_large_kernelILj256ELj16ELb1E21rocsparse_complex_numIfEEEviiPKiS4_PKT2_iPS5_iPiS4_S9_21rocsparse_index_base_20rocsparse_diag_type_20rocsparse_direction_.num_vgpr, 18
	.set _ZN9rocsparseL24bsrsm_lower_large_kernelILj256ELj16ELb1E21rocsparse_complex_numIfEEEviiPKiS4_PKT2_iPS5_iPiS4_S9_21rocsparse_index_base_20rocsparse_diag_type_20rocsparse_direction_.num_agpr, 0
	.set _ZN9rocsparseL24bsrsm_lower_large_kernelILj256ELj16ELb1E21rocsparse_complex_numIfEEEviiPKiS4_PKT2_iPS5_iPiS4_S9_21rocsparse_index_base_20rocsparse_diag_type_20rocsparse_direction_.numbered_sgpr, 36
	.set _ZN9rocsparseL24bsrsm_lower_large_kernelILj256ELj16ELb1E21rocsparse_complex_numIfEEEviiPKiS4_PKT2_iPS5_iPiS4_S9_21rocsparse_index_base_20rocsparse_diag_type_20rocsparse_direction_.num_named_barrier, 0
	.set _ZN9rocsparseL24bsrsm_lower_large_kernelILj256ELj16ELb1E21rocsparse_complex_numIfEEEviiPKiS4_PKT2_iPS5_iPiS4_S9_21rocsparse_index_base_20rocsparse_diag_type_20rocsparse_direction_.private_seg_size, 0
	.set _ZN9rocsparseL24bsrsm_lower_large_kernelILj256ELj16ELb1E21rocsparse_complex_numIfEEEviiPKiS4_PKT2_iPS5_iPiS4_S9_21rocsparse_index_base_20rocsparse_diag_type_20rocsparse_direction_.uses_vcc, 1
	.set _ZN9rocsparseL24bsrsm_lower_large_kernelILj256ELj16ELb1E21rocsparse_complex_numIfEEEviiPKiS4_PKT2_iPS5_iPiS4_S9_21rocsparse_index_base_20rocsparse_diag_type_20rocsparse_direction_.uses_flat_scratch, 0
	.set _ZN9rocsparseL24bsrsm_lower_large_kernelILj256ELj16ELb1E21rocsparse_complex_numIfEEEviiPKiS4_PKT2_iPS5_iPiS4_S9_21rocsparse_index_base_20rocsparse_diag_type_20rocsparse_direction_.has_dyn_sized_stack, 0
	.set _ZN9rocsparseL24bsrsm_lower_large_kernelILj256ELj16ELb1E21rocsparse_complex_numIfEEEviiPKiS4_PKT2_iPS5_iPiS4_S9_21rocsparse_index_base_20rocsparse_diag_type_20rocsparse_direction_.has_recursion, 0
	.set _ZN9rocsparseL24bsrsm_lower_large_kernelILj256ELj16ELb1E21rocsparse_complex_numIfEEEviiPKiS4_PKT2_iPS5_iPiS4_S9_21rocsparse_index_base_20rocsparse_diag_type_20rocsparse_direction_.has_indirect_call, 0
	.section	.AMDGPU.csdata,"",@progbits
; Kernel info:
; codeLenInByte = 1820
; TotalNumSgprs: 38
; NumVgprs: 18
; ScratchSize: 0
; MemoryBound: 0
; FloatMode: 240
; IeeeMode: 1
; LDSByteSize: 0 bytes/workgroup (compile time only)
; SGPRBlocks: 0
; VGPRBlocks: 1
; NumSGPRsForWavesPerEU: 38
; NumVGPRsForWavesPerEU: 18
; NamedBarCnt: 0
; Occupancy: 16
; WaveLimiterHint : 1
; COMPUTE_PGM_RSRC2:SCRATCH_EN: 0
; COMPUTE_PGM_RSRC2:USER_SGPR: 2
; COMPUTE_PGM_RSRC2:TRAP_HANDLER: 0
; COMPUTE_PGM_RSRC2:TGID_X_EN: 1
; COMPUTE_PGM_RSRC2:TGID_Y_EN: 0
; COMPUTE_PGM_RSRC2:TGID_Z_EN: 0
; COMPUTE_PGM_RSRC2:TIDIG_COMP_CNT: 0
	.section	.text._ZN9rocsparseL24bsrsm_upper_large_kernelILj64ELj16ELb0E21rocsparse_complex_numIfEEEviiPKiS4_PKT2_iPS5_iPiS4_S9_21rocsparse_index_base_20rocsparse_diag_type_20rocsparse_direction_,"axG",@progbits,_ZN9rocsparseL24bsrsm_upper_large_kernelILj64ELj16ELb0E21rocsparse_complex_numIfEEEviiPKiS4_PKT2_iPS5_iPiS4_S9_21rocsparse_index_base_20rocsparse_diag_type_20rocsparse_direction_,comdat
	.globl	_ZN9rocsparseL24bsrsm_upper_large_kernelILj64ELj16ELb0E21rocsparse_complex_numIfEEEviiPKiS4_PKT2_iPS5_iPiS4_S9_21rocsparse_index_base_20rocsparse_diag_type_20rocsparse_direction_ ; -- Begin function _ZN9rocsparseL24bsrsm_upper_large_kernelILj64ELj16ELb0E21rocsparse_complex_numIfEEEviiPKiS4_PKT2_iPS5_iPiS4_S9_21rocsparse_index_base_20rocsparse_diag_type_20rocsparse_direction_
	.p2align	8
	.type	_ZN9rocsparseL24bsrsm_upper_large_kernelILj64ELj16ELb0E21rocsparse_complex_numIfEEEviiPKiS4_PKT2_iPS5_iPiS4_S9_21rocsparse_index_base_20rocsparse_diag_type_20rocsparse_direction_,@function
_ZN9rocsparseL24bsrsm_upper_large_kernelILj64ELj16ELb0E21rocsparse_complex_numIfEEEviiPKiS4_PKT2_iPS5_iPiS4_S9_21rocsparse_index_base_20rocsparse_diag_type_20rocsparse_direction_: ; @_ZN9rocsparseL24bsrsm_upper_large_kernelILj64ELj16ELb0E21rocsparse_complex_numIfEEEviiPKiS4_PKT2_iPS5_iPiS4_S9_21rocsparse_index_base_20rocsparse_diag_type_20rocsparse_direction_
; %bb.0:
	s_clause 0x1
	s_load_b64 s[24:25], s[0:1], 0x0
	s_load_b128 s[8:11], s[0:1], 0x8
	s_bfe_u32 s4, ttmp6, 0x4000c
	s_and_b32 s3, ttmp6, 15
	s_add_co_i32 s4, s4, 1
	s_getreg_b32 s5, hwreg(HW_REG_IB_STS2, 6, 4)
	s_mul_i32 s4, ttmp9, s4
	v_dual_lshrrev_b32 v4, 2, v0 :: v_dual_bitop2_b32 v8, 3, v0 bitop3:0x40
	s_add_co_i32 s3, s3, s4
	s_wait_kmcnt 0x0
	s_cvt_f32_u32 s2, s24
	s_sub_co_i32 s6, 0, s24
	s_delay_alu instid0(SALU_CYCLE_2) | instskip(SKIP_1) | instid1(TRANS32_DEP_1)
	v_rcp_iflag_f32_e32 v1, s2
	v_nop
	v_readfirstlane_b32 s2, v1
	s_mul_f32 s2, s2, 0x4f7ffffe
	s_delay_alu instid0(SALU_CYCLE_3) | instskip(NEXT) | instid1(SALU_CYCLE_3)
	s_cvt_u32_f32 s2, s2
	s_mul_i32 s6, s6, s2
	s_delay_alu instid0(SALU_CYCLE_1) | instskip(NEXT) | instid1(SALU_CYCLE_1)
	s_mul_hi_u32 s6, s2, s6
	s_add_co_i32 s2, s2, s6
	s_cmp_eq_u32 s5, 0
	s_load_b128 s[4:7], s[0:1], 0x38
	s_cselect_b32 s3, ttmp9, s3
	s_delay_alu instid0(SALU_CYCLE_1) | instskip(NEXT) | instid1(SALU_CYCLE_1)
	s_mul_hi_u32 s2, s3, s2
	s_mul_i32 s12, s2, s24
	s_add_co_i32 s13, s2, 1
	s_sub_co_i32 s12, s3, s12
	s_delay_alu instid0(SALU_CYCLE_1)
	s_sub_co_i32 s14, s12, s24
	s_cmp_ge_u32 s12, s24
	s_cselect_b32 s2, s13, s2
	s_cselect_b32 s12, s14, s12
	s_add_co_i32 s13, s2, 1
	s_cmp_ge_u32 s12, s24
	s_cselect_b32 s19, s13, s2
	s_delay_alu instid0(SALU_CYCLE_1) | instskip(SKIP_4) | instid1(SALU_CYCLE_1)
	s_mul_i32 s15, s19, s24
	s_lshl_b32 s19, s19, 4
	s_sub_co_i32 s2, s3, s15
	v_or_b32_e32 v1, s19, v4
	s_ashr_i32 s3, s2, 31
	s_lshl_b64 s[12:13], s[2:3], 2
	s_load_b64 s[2:3], s[0:1], 0x48
	s_wait_kmcnt 0x0
	s_add_nc_u64 s[6:7], s[6:7], s[12:13]
	s_load_b96 s[12:14], s[0:1], 0x50
	v_cmp_gt_i32_e32 vcc_lo, s25, v1
	s_load_b32 s6, s[6:7], 0x0
	s_wait_kmcnt 0x0
	s_ashr_i32 s7, s6, 31
	s_delay_alu instid0(SALU_CYCLE_1) | instskip(NEXT) | instid1(SALU_CYCLE_1)
	s_lshl_b64 s[16:17], s[6:7], 2
	s_add_nc_u64 s[8:9], s[8:9], s[16:17]
	s_load_b64 s[26:27], s[8:9], 0x0
	s_clause 0x1
	s_load_b96 s[16:18], s[0:1], 0x18
	s_load_b96 s[20:22], s[0:1], 0x28
	s_wait_xcnt 0x0
	s_not_b32 s0, s12
	s_wait_kmcnt 0x0
	s_add_co_i32 s23, s27, s0
	v_cmp_eq_u32_e64 s0, 0, v0
	s_sub_co_i32 s26, s26, s12
	s_mul_i32 s7, s6, s18
	s_cmp_lt_i32 s23, s26
	s_cbranch_scc1 .LBB38_18
; %bb.1:
	v_mad_u32 v2, s18, s23, v8
	v_cmp_gt_i32_e64 s1, s18, v8
	v_mov_b32_e32 v6, 0
	s_cmp_lg_u32 s14, 0
	s_mul_i32 s29, s22, s18
	s_cselect_b32 s27, -1, 0
	s_and_b32 s1, vcc_lo, s1
	s_mul_i32 s30, s18, s18
	s_lshl_b32 s31, s18, 2
	v_mul_lo_u32 v5, s18, v2
	s_branch .LBB38_3
.LBB38_2:                               ;   in Loop: Header=BB38_3 Depth=1
                                        ; implicit-def: $vgpr5
	s_cbranch_execnz .LBB38_19
.LBB38_3:                               ; =>This Loop Header: Depth=1
                                        ;     Child Loop BB38_7 Depth 2
                                        ;     Child Loop BB38_11 Depth 2
                                        ;       Child Loop BB38_13 Depth 3
	s_wait_xcnt 0x0
	v_mov_b32_e32 v2, s23
	global_load_b32 v2, v2, s[10:11] scale_offset
	s_wait_loadcnt 0x0
	v_readfirstlane_b32 s8, v2
	s_sub_co_i32 s28, s8, s12
	s_delay_alu instid0(SALU_CYCLE_1)
	s_cmp_le_i32 s28, s6
	s_cbranch_scc1 .LBB38_2
; %bb.4:                                ;   in Loop: Header=BB38_3 Depth=1
	s_wait_xcnt 0x0
	s_and_saveexec_b32 s33, s0
	s_cbranch_execz .LBB38_8
; %bb.5:                                ;   in Loop: Header=BB38_3 Depth=1
	s_add_co_i32 s8, s28, s15
	s_delay_alu instid0(SALU_CYCLE_1)
	v_mov_b32_e32 v2, s8
	global_load_b32 v2, v2, s[4:5] scale_offset scope:SCOPE_DEV
	s_wait_loadcnt 0x0
	v_cmp_ne_u32_e32 vcc_lo, 0, v2
	s_cbranch_vccnz .LBB38_8
; %bb.6:                                ;   in Loop: Header=BB38_3 Depth=1
	s_ashr_i32 s9, s8, 31
	s_delay_alu instid0(SALU_CYCLE_1) | instskip(NEXT) | instid1(SALU_CYCLE_1)
	s_lshl_b64 s[8:9], s[8:9], 2
	s_add_nc_u64 s[8:9], s[4:5], s[8:9]
.LBB38_7:                               ;   Parent Loop BB38_3 Depth=1
                                        ; =>  This Inner Loop Header: Depth=2
	global_load_b32 v2, v6, s[8:9] scope:SCOPE_DEV
	s_wait_loadcnt 0x0
	v_cmp_eq_u32_e32 vcc_lo, 0, v2
	s_cbranch_vccnz .LBB38_7
.LBB38_8:                               ;   in Loop: Header=BB38_3 Depth=1
	s_wait_xcnt 0x0
	s_or_b32 exec_lo, exec_lo, s33
	global_wb scope:SCOPE_DEV
	s_wait_storecnt 0x0
	global_inv scope:SCOPE_DEV
	s_wait_loadcnt 0x0
	s_barrier_signal -1
	s_barrier_wait -1
	s_and_saveexec_b32 s8, s1
	s_cbranch_execz .LBB38_17
; %bb.9:                                ;   in Loop: Header=BB38_3 Depth=1
	v_mad_u32 v7, s29, s28, v1
	v_dual_mov_b32 v9, v5 :: v_dual_mov_b32 v10, v8
	s_mul_i32 s9, s23, s18
	s_mov_b32 s33, 0
	s_branch .LBB38_11
.LBB38_10:                              ;   in Loop: Header=BB38_11 Depth=2
	v_dual_add_nc_u32 v11, s7, v10 :: v_dual_add_nc_u32 v10, 4, v10
	v_add_nc_u32_e32 v9, s31, v9
	s_delay_alu instid0(VALU_DEP_2) | instskip(NEXT) | instid1(VALU_DEP_3)
	v_mad_u32 v11, v11, s22, v1
	v_cmp_le_i32_e32 vcc_lo, s18, v10
	s_or_b32 s33, vcc_lo, s33
	global_load_b64 v[12:13], v11, s[20:21] scale_offset
	s_wait_loadcnt 0x0
	v_pk_add_f32 v[2:3], v[12:13], v[2:3] neg_lo:[0,1] neg_hi:[0,1]
	global_store_b64 v11, v[2:3], s[20:21] scale_offset
	s_wait_xcnt 0x0
	s_and_not1_b32 exec_lo, exec_lo, s33
	s_cbranch_execz .LBB38_17
.LBB38_11:                              ;   Parent Loop BB38_3 Depth=1
                                        ; =>  This Loop Header: Depth=2
                                        ;       Child Loop BB38_13 Depth 3
	s_delay_alu instid0(VALU_DEP_2) | instskip(SKIP_1) | instid1(VALU_DEP_1)
	v_dual_mov_b32 v2, 0 :: v_dual_mov_b32 v11, v7
	s_mov_b32 s34, 0
	v_mov_b32_e32 v3, v2
	s_branch .LBB38_13
.LBB38_12:                              ;   in Loop: Header=BB38_13 Depth=3
	global_load_b64 v[14:15], v11, s[20:21] scale_offset
	global_load_b64 v[16:17], v12, s[16:17] scale_offset
	s_wait_xcnt 0x1
	v_add_nc_u32_e32 v11, s22, v11
	s_add_co_i32 s34, s34, 1
	s_delay_alu instid0(SALU_CYCLE_1) | instskip(SKIP_2) | instid1(VALU_DEP_1)
	s_cmp_eq_u32 s18, s34
	s_wait_loadcnt 0x0
	v_pk_fma_f32 v[2:3], v[16:17], v[14:15], v[2:3] op_sel_hi:[1,0,1]
	v_pk_fma_f32 v[2:3], v[16:17], v[14:15], v[2:3] op_sel:[1,1,0] op_sel_hi:[0,1,1] neg_lo:[1,0,0]
	s_cbranch_scc1 .LBB38_10
.LBB38_13:                              ;   Parent Loop BB38_3 Depth=1
                                        ;     Parent Loop BB38_11 Depth=2
                                        ; =>    This Inner Loop Header: Depth=3
	s_and_b32 vcc_lo, exec_lo, s27
	s_cbranch_vccz .LBB38_15
; %bb.14:                               ;   in Loop: Header=BB38_13 Depth=3
	s_add_co_i32 s35, s34, s9
	s_wait_xcnt 0x0
	v_mad_u32 v12, s35, s18, v10
	s_cbranch_execnz .LBB38_12
	s_branch .LBB38_16
.LBB38_15:                              ;   in Loop: Header=BB38_13 Depth=3
                                        ; implicit-def: $vgpr12
.LBB38_16:                              ;   in Loop: Header=BB38_13 Depth=3
	s_wait_xcnt 0x0
	v_add_nc_u32_e32 v12, s34, v9
	s_branch .LBB38_12
.LBB38_17:                              ;   in Loop: Header=BB38_3 Depth=1
	s_or_b32 exec_lo, exec_lo, s8
	s_add_co_i32 s9, s23, -1
	s_cmp_le_i32 s23, s26
	v_subrev_nc_u32_e32 v5, s30, v5
	s_cselect_b32 s8, -1, 0
	s_mov_b32 s23, s9
	s_and_b32 vcc_lo, exec_lo, s8
	s_cbranch_vccz .LBB38_3
	s_branch .LBB38_19
.LBB38_18:
	s_mov_b32 s28, s24
.LBB38_19:
	s_cmp_lt_i32 s6, s24
	v_cmp_gt_i32_e32 vcc_lo, s25, v1
	s_cselect_b32 s1, -1, 0
	s_cmp_eq_u32 s6, s28
	s_cselect_b32 s0, -1, 0
	s_delay_alu instid0(SALU_CYCLE_1) | instskip(SKIP_2) | instid1(SALU_CYCLE_1)
	s_and_b32 s0, vcc_lo, s0
	s_cmp_gt_i32 s18, 0
	s_cselect_b32 s8, -1, 0
	s_and_b32 s8, s0, s8
	s_mov_b32 s0, 0
	s_and_b32 s9, s8, s1
	s_wait_xcnt 0x0
	s_and_saveexec_b32 s8, s9
	s_cbranch_execz .LBB38_36
; %bb.20:
	v_add_nc_u32_e32 v2, s7, v8
	s_cmp_eq_u32 s13, 0
	s_mov_b32 s11, 0
	s_cselect_b32 s9, -1, 0
	s_cmp_lg_u32 s14, 0
	v_mul_lo_u32 v2, s22, v2
	s_cselect_b32 s10, -1, 0
	s_add_co_i32 s0, s23, 1
	s_mul_i32 s13, s23, s18
	s_mul_i32 s0, s18, s0
	s_lshl_b32 s14, s22, 2
	s_add_co_i32 s0, s0, -1
	s_mov_b32 s23, s18
	s_delay_alu instid0(VALU_DEP_1)
	v_add3_u32 v9, v4, v2, s19
	s_mul_i32 s19, s18, s0
	s_and_not1_b32 vcc_lo, exec_lo, s9
	s_add_co_i32 s24, s23, -1
	s_cbranch_vccz .LBB38_22
.LBB38_21:
	v_dual_mov_b32 v4, 1.0 :: v_dual_mov_b32 v5, 0
	s_branch .LBB38_23
.LBB38_22:
	s_add_co_i32 s0, s24, s13
	s_delay_alu instid0(SALU_CYCLE_1) | instskip(NEXT) | instid1(SALU_CYCLE_1)
	s_mul_i32 s0, s0, s18
	s_add_co_i32 s0, s0, s24
	s_wait_loadcnt 0x0
	v_mov_b32_e32 v2, s0
	global_load_b64 v[4:5], v2, s[16:17] scale_offset
.LBB38_23:
	s_add_co_i32 s0, s24, s7
	s_wait_loadcnt 0x0
	s_delay_alu instid0(VALU_DEP_1) | instskip(SKIP_3) | instid1(SALU_CYCLE_1)
	v_cmp_eq_f32_e32 vcc_lo, 0, v4
	v_mad_u32 v6, s0, s22, v1
	v_cmp_eq_f32_e64 s0, 0, v5
	s_and_b32 s0, vcc_lo, s0
	s_and_b32 vcc_lo, exec_lo, s0
	global_load_b64 v[2:3], v6, s[20:21] scale_offset
	s_cbranch_vccnz .LBB38_25
; %bb.24:
	v_mul_f32_e32 v12, v5, v5
	s_delay_alu instid0(VALU_DEP_1) | instskip(NEXT) | instid1(VALU_DEP_1)
	v_fmac_f32_e32 v12, v4, v4
	v_div_scale_f32 v7, null, v12, v12, 1.0
	v_div_scale_f32 v13, vcc_lo, 1.0, v12, 1.0
	s_delay_alu instid0(VALU_DEP_2)
	v_rcp_f32_e32 v11, v7
	v_nop
	v_xor_b32_e32 v7, 0x80000000, v7
	s_delay_alu instid0(TRANS32_DEP_1) | instid1(VALU_DEP_1)
	v_fma_f32 v10, v7, v11, 1.0
	s_delay_alu instid0(VALU_DEP_1) | instskip(NEXT) | instid1(VALU_DEP_1)
	v_fmac_f32_e32 v11, v10, v11
	v_mul_f32_e32 v14, v13, v11
	s_delay_alu instid0(VALU_DEP_1) | instskip(NEXT) | instid1(VALU_DEP_1)
	v_fma_f32 v10, v7, v14, v13
	v_dual_fmac_f32 v14, v10, v11 :: v_dual_mov_b32 v10, v5
	s_delay_alu instid0(VALU_DEP_1) | instskip(SKIP_1) | instid1(VALU_DEP_2)
	v_fmac_f32_e32 v13, v7, v14
	v_ashrrev_i32_e32 v7, 31, v6
	v_div_fmas_f32 v5, v13, v11, v14
	s_wait_loadcnt 0x0
	v_pk_mul_f32 v[10:11], v[10:11], v[2:3] op_sel:[0,1] op_sel_hi:[0,0] neg_hi:[0,1]
	s_delay_alu instid0(VALU_DEP_2) | instskip(NEXT) | instid1(VALU_DEP_2)
	v_div_fixup_f32 v12, v5, v12, 1.0
	v_pk_fma_f32 v[2:3], v[2:3], v[4:5], v[10:11] op_sel_hi:[1,0,1]
	v_lshl_add_u64 v[4:5], v[6:7], 3, s[20:21]
	s_delay_alu instid0(VALU_DEP_2)
	v_pk_mul_f32 v[2:3], v[12:13], v[2:3] op_sel_hi:[0,1]
	global_store_b64 v[4:5], v[2:3], off
	s_mov_b32 s0, exec_lo
	s_wait_xcnt 0x0
	v_cmpx_gt_i32_e64 s24, v8
	s_cbranch_execnz .LBB38_26
	s_branch .LBB38_32
.LBB38_25:
	s_mov_b32 s11, -1
	s_mov_b32 s0, exec_lo
	s_wait_xcnt 0x0
	v_cmpx_gt_i32_e64 s24, v8
	s_cbranch_execz .LBB38_32
.LBB38_26:
	s_wait_loadcnt 0x0
	v_xor_b32_e32 v4, 0x80000000, v3
	v_dual_mov_b32 v5, v2 :: v_dual_mov_b32 v6, v9
	v_mov_b32_e32 v7, v8
	s_mov_b32 s25, 0
	s_branch .LBB38_28
.LBB38_27:                              ;   in Loop: Header=BB38_28 Depth=1
	global_load_b64 v[12:13], v10, s[16:17] scale_offset
	global_load_b64 v[14:15], v6, s[20:21] scale_offset
	v_add_nc_u32_e32 v7, 4, v7
	s_wait_loadcnt 0x1
	s_wait_xcnt 0x1
	v_pk_mul_f32 v[10:11], v[12:13], v[4:5] op_sel:[1,0]
	s_delay_alu instid0(VALU_DEP_1) | instskip(SKIP_1) | instid1(VALU_DEP_1)
	v_pk_fma_f32 v[10:11], v[2:3], v[12:13], v[10:11] op_sel_hi:[1,0,1]
	s_wait_loadcnt 0x0
	v_pk_add_f32 v[10:11], v[14:15], v[10:11] neg_lo:[0,1] neg_hi:[0,1]
	global_store_b64 v6, v[10:11], s[20:21] scale_offset
	s_wait_xcnt 0x0
	v_add_nc_u32_e32 v6, s14, v6
	v_cmp_le_i32_e32 vcc_lo, s24, v7
	s_or_b32 s25, vcc_lo, s25
	s_delay_alu instid0(SALU_CYCLE_1)
	s_and_not1_b32 exec_lo, exec_lo, s25
	s_cbranch_execz .LBB38_32
.LBB38_28:                              ; =>This Inner Loop Header: Depth=1
	s_and_b32 vcc_lo, exec_lo, s10
	s_cbranch_vccz .LBB38_30
; %bb.29:                               ;   in Loop: Header=BB38_28 Depth=1
	v_add_nc_u32_e32 v10, s19, v7
	s_cbranch_execnz .LBB38_27
	s_branch .LBB38_31
.LBB38_30:                              ;   in Loop: Header=BB38_28 Depth=1
                                        ; implicit-def: $vgpr10
.LBB38_31:                              ;   in Loop: Header=BB38_28 Depth=1
	v_add_nc_u32_e32 v10, s13, v7
	s_delay_alu instid0(VALU_DEP_1)
	v_mad_u32 v10, v10, s18, s24
	s_branch .LBB38_27
.LBB38_32:
	s_or_b32 exec_lo, exec_lo, s0
; %bb.33:
	s_sub_co_i32 s19, s19, s18
	s_cmp_lt_i32 s23, 2
	s_cbranch_scc1 .LBB38_35
; %bb.34:
	s_mov_b32 s23, s24
	s_and_not1_b32 vcc_lo, exec_lo, s9
	s_add_co_i32 s24, s23, -1
	s_cbranch_vccnz .LBB38_21
	s_branch .LBB38_22
.LBB38_35:
	s_and_b32 s0, s11, exec_lo
.LBB38_36:
	s_or_b32 exec_lo, exec_lo, s8
	v_cmp_eq_u32_e32 vcc_lo, 0, v0
	global_wb scope:SCOPE_DEV
	s_wait_loadcnt 0x0
	s_wait_storecnt 0x0
	global_inv scope:SCOPE_DEV
	s_wait_loadcnt 0x0
	s_barrier_signal -1
	s_barrier_wait -1
	s_and_b32 s1, vcc_lo, s1
	s_delay_alu instid0(SALU_CYCLE_1)
	s_and_saveexec_b32 s7, s1
	s_cbranch_execz .LBB38_40
; %bb.37:
	s_add_co_i32 s1, s6, s15
	s_delay_alu instid0(SALU_CYCLE_1)
	v_dual_mov_b32 v0, 1 :: v_dual_mov_b32 v1, s1
	global_store_b32 v1, v0, s[4:5] scale_offset scope:SCOPE_DEV
	s_wait_xcnt 0x0
	s_and_b32 exec_lo, exec_lo, s0
	s_cbranch_execz .LBB38_40
; %bb.38:
	v_mbcnt_lo_u32_b32 v0, exec_lo, 0
	s_delay_alu instid0(VALU_DEP_1)
	v_cmp_eq_u32_e32 vcc_lo, 0, v0
	s_and_b32 exec_lo, exec_lo, vcc_lo
	s_cbranch_execz .LBB38_40
; %bb.39:
	s_add_co_i32 s0, s6, s12
	s_delay_alu instid0(SALU_CYCLE_1)
	v_dual_mov_b32 v0, 0 :: v_dual_mov_b32 v1, s0
	global_atomic_min_i32 v0, v1, s[2:3] scope:SCOPE_DEV
.LBB38_40:
	s_endpgm
	.section	.rodata,"a",@progbits
	.p2align	6, 0x0
	.amdhsa_kernel _ZN9rocsparseL24bsrsm_upper_large_kernelILj64ELj16ELb0E21rocsparse_complex_numIfEEEviiPKiS4_PKT2_iPS5_iPiS4_S9_21rocsparse_index_base_20rocsparse_diag_type_20rocsparse_direction_
		.amdhsa_group_segment_fixed_size 0
		.amdhsa_private_segment_fixed_size 0
		.amdhsa_kernarg_size 92
		.amdhsa_user_sgpr_count 2
		.amdhsa_user_sgpr_dispatch_ptr 0
		.amdhsa_user_sgpr_queue_ptr 0
		.amdhsa_user_sgpr_kernarg_segment_ptr 1
		.amdhsa_user_sgpr_dispatch_id 0
		.amdhsa_user_sgpr_kernarg_preload_length 0
		.amdhsa_user_sgpr_kernarg_preload_offset 0
		.amdhsa_user_sgpr_private_segment_size 0
		.amdhsa_wavefront_size32 1
		.amdhsa_uses_dynamic_stack 0
		.amdhsa_enable_private_segment 0
		.amdhsa_system_sgpr_workgroup_id_x 1
		.amdhsa_system_sgpr_workgroup_id_y 0
		.amdhsa_system_sgpr_workgroup_id_z 0
		.amdhsa_system_sgpr_workgroup_info 0
		.amdhsa_system_vgpr_workitem_id 0
		.amdhsa_next_free_vgpr 18
		.amdhsa_next_free_sgpr 36
		.amdhsa_named_barrier_count 0
		.amdhsa_reserve_vcc 1
		.amdhsa_float_round_mode_32 0
		.amdhsa_float_round_mode_16_64 0
		.amdhsa_float_denorm_mode_32 3
		.amdhsa_float_denorm_mode_16_64 3
		.amdhsa_fp16_overflow 0
		.amdhsa_memory_ordered 1
		.amdhsa_forward_progress 1
		.amdhsa_inst_pref_size 14
		.amdhsa_round_robin_scheduling 0
		.amdhsa_exception_fp_ieee_invalid_op 0
		.amdhsa_exception_fp_denorm_src 0
		.amdhsa_exception_fp_ieee_div_zero 0
		.amdhsa_exception_fp_ieee_overflow 0
		.amdhsa_exception_fp_ieee_underflow 0
		.amdhsa_exception_fp_ieee_inexact 0
		.amdhsa_exception_int_div_zero 0
	.end_amdhsa_kernel
	.section	.text._ZN9rocsparseL24bsrsm_upper_large_kernelILj64ELj16ELb0E21rocsparse_complex_numIfEEEviiPKiS4_PKT2_iPS5_iPiS4_S9_21rocsparse_index_base_20rocsparse_diag_type_20rocsparse_direction_,"axG",@progbits,_ZN9rocsparseL24bsrsm_upper_large_kernelILj64ELj16ELb0E21rocsparse_complex_numIfEEEviiPKiS4_PKT2_iPS5_iPiS4_S9_21rocsparse_index_base_20rocsparse_diag_type_20rocsparse_direction_,comdat
.Lfunc_end38:
	.size	_ZN9rocsparseL24bsrsm_upper_large_kernelILj64ELj16ELb0E21rocsparse_complex_numIfEEEviiPKiS4_PKT2_iPS5_iPiS4_S9_21rocsparse_index_base_20rocsparse_diag_type_20rocsparse_direction_, .Lfunc_end38-_ZN9rocsparseL24bsrsm_upper_large_kernelILj64ELj16ELb0E21rocsparse_complex_numIfEEEviiPKiS4_PKT2_iPS5_iPiS4_S9_21rocsparse_index_base_20rocsparse_diag_type_20rocsparse_direction_
                                        ; -- End function
	.set _ZN9rocsparseL24bsrsm_upper_large_kernelILj64ELj16ELb0E21rocsparse_complex_numIfEEEviiPKiS4_PKT2_iPS5_iPiS4_S9_21rocsparse_index_base_20rocsparse_diag_type_20rocsparse_direction_.num_vgpr, 18
	.set _ZN9rocsparseL24bsrsm_upper_large_kernelILj64ELj16ELb0E21rocsparse_complex_numIfEEEviiPKiS4_PKT2_iPS5_iPiS4_S9_21rocsparse_index_base_20rocsparse_diag_type_20rocsparse_direction_.num_agpr, 0
	.set _ZN9rocsparseL24bsrsm_upper_large_kernelILj64ELj16ELb0E21rocsparse_complex_numIfEEEviiPKiS4_PKT2_iPS5_iPiS4_S9_21rocsparse_index_base_20rocsparse_diag_type_20rocsparse_direction_.numbered_sgpr, 36
	.set _ZN9rocsparseL24bsrsm_upper_large_kernelILj64ELj16ELb0E21rocsparse_complex_numIfEEEviiPKiS4_PKT2_iPS5_iPiS4_S9_21rocsparse_index_base_20rocsparse_diag_type_20rocsparse_direction_.num_named_barrier, 0
	.set _ZN9rocsparseL24bsrsm_upper_large_kernelILj64ELj16ELb0E21rocsparse_complex_numIfEEEviiPKiS4_PKT2_iPS5_iPiS4_S9_21rocsparse_index_base_20rocsparse_diag_type_20rocsparse_direction_.private_seg_size, 0
	.set _ZN9rocsparseL24bsrsm_upper_large_kernelILj64ELj16ELb0E21rocsparse_complex_numIfEEEviiPKiS4_PKT2_iPS5_iPiS4_S9_21rocsparse_index_base_20rocsparse_diag_type_20rocsparse_direction_.uses_vcc, 1
	.set _ZN9rocsparseL24bsrsm_upper_large_kernelILj64ELj16ELb0E21rocsparse_complex_numIfEEEviiPKiS4_PKT2_iPS5_iPiS4_S9_21rocsparse_index_base_20rocsparse_diag_type_20rocsparse_direction_.uses_flat_scratch, 0
	.set _ZN9rocsparseL24bsrsm_upper_large_kernelILj64ELj16ELb0E21rocsparse_complex_numIfEEEviiPKiS4_PKT2_iPS5_iPiS4_S9_21rocsparse_index_base_20rocsparse_diag_type_20rocsparse_direction_.has_dyn_sized_stack, 0
	.set _ZN9rocsparseL24bsrsm_upper_large_kernelILj64ELj16ELb0E21rocsparse_complex_numIfEEEviiPKiS4_PKT2_iPS5_iPiS4_S9_21rocsparse_index_base_20rocsparse_diag_type_20rocsparse_direction_.has_recursion, 0
	.set _ZN9rocsparseL24bsrsm_upper_large_kernelILj64ELj16ELb0E21rocsparse_complex_numIfEEEviiPKiS4_PKT2_iPS5_iPiS4_S9_21rocsparse_index_base_20rocsparse_diag_type_20rocsparse_direction_.has_indirect_call, 0
	.section	.AMDGPU.csdata,"",@progbits
; Kernel info:
; codeLenInByte = 1736
; TotalNumSgprs: 38
; NumVgprs: 18
; ScratchSize: 0
; MemoryBound: 0
; FloatMode: 240
; IeeeMode: 1
; LDSByteSize: 0 bytes/workgroup (compile time only)
; SGPRBlocks: 0
; VGPRBlocks: 1
; NumSGPRsForWavesPerEU: 38
; NumVGPRsForWavesPerEU: 18
; NamedBarCnt: 0
; Occupancy: 16
; WaveLimiterHint : 1
; COMPUTE_PGM_RSRC2:SCRATCH_EN: 0
; COMPUTE_PGM_RSRC2:USER_SGPR: 2
; COMPUTE_PGM_RSRC2:TRAP_HANDLER: 0
; COMPUTE_PGM_RSRC2:TGID_X_EN: 1
; COMPUTE_PGM_RSRC2:TGID_Y_EN: 0
; COMPUTE_PGM_RSRC2:TGID_Z_EN: 0
; COMPUTE_PGM_RSRC2:TIDIG_COMP_CNT: 0
	.section	.text._ZN9rocsparseL24bsrsm_lower_large_kernelILj64ELj16ELb0E21rocsparse_complex_numIfEEEviiPKiS4_PKT2_iPS5_iPiS4_S9_21rocsparse_index_base_20rocsparse_diag_type_20rocsparse_direction_,"axG",@progbits,_ZN9rocsparseL24bsrsm_lower_large_kernelILj64ELj16ELb0E21rocsparse_complex_numIfEEEviiPKiS4_PKT2_iPS5_iPiS4_S9_21rocsparse_index_base_20rocsparse_diag_type_20rocsparse_direction_,comdat
	.globl	_ZN9rocsparseL24bsrsm_lower_large_kernelILj64ELj16ELb0E21rocsparse_complex_numIfEEEviiPKiS4_PKT2_iPS5_iPiS4_S9_21rocsparse_index_base_20rocsparse_diag_type_20rocsparse_direction_ ; -- Begin function _ZN9rocsparseL24bsrsm_lower_large_kernelILj64ELj16ELb0E21rocsparse_complex_numIfEEEviiPKiS4_PKT2_iPS5_iPiS4_S9_21rocsparse_index_base_20rocsparse_diag_type_20rocsparse_direction_
	.p2align	8
	.type	_ZN9rocsparseL24bsrsm_lower_large_kernelILj64ELj16ELb0E21rocsparse_complex_numIfEEEviiPKiS4_PKT2_iPS5_iPiS4_S9_21rocsparse_index_base_20rocsparse_diag_type_20rocsparse_direction_,@function
_ZN9rocsparseL24bsrsm_lower_large_kernelILj64ELj16ELb0E21rocsparse_complex_numIfEEEviiPKiS4_PKT2_iPS5_iPiS4_S9_21rocsparse_index_base_20rocsparse_diag_type_20rocsparse_direction_: ; @_ZN9rocsparseL24bsrsm_lower_large_kernelILj64ELj16ELb0E21rocsparse_complex_numIfEEEviiPKiS4_PKT2_iPS5_iPiS4_S9_21rocsparse_index_base_20rocsparse_diag_type_20rocsparse_direction_
; %bb.0:
	s_clause 0x1
	s_load_b64 s[24:25], s[0:1], 0x0
	s_load_b128 s[8:11], s[0:1], 0x8
	s_bfe_u32 s4, ttmp6, 0x4000c
	s_and_b32 s3, ttmp6, 15
	s_add_co_i32 s4, s4, 1
	s_getreg_b32 s5, hwreg(HW_REG_IB_STS2, 6, 4)
	s_mul_i32 s4, ttmp9, s4
	v_dual_lshrrev_b32 v4, 2, v0 :: v_dual_bitop2_b32 v5, 3, v0 bitop3:0x40
	s_add_co_i32 s3, s3, s4
	s_wait_kmcnt 0x0
	s_cvt_f32_u32 s2, s24
	s_sub_co_i32 s6, 0, s24
	s_delay_alu instid0(SALU_CYCLE_2) | instskip(SKIP_1) | instid1(TRANS32_DEP_1)
	v_rcp_iflag_f32_e32 v1, s2
	v_nop
	v_readfirstlane_b32 s2, v1
	s_mul_f32 s2, s2, 0x4f7ffffe
	s_delay_alu instid0(SALU_CYCLE_3) | instskip(NEXT) | instid1(SALU_CYCLE_3)
	s_cvt_u32_f32 s2, s2
	s_mul_i32 s6, s6, s2
	s_delay_alu instid0(SALU_CYCLE_1) | instskip(NEXT) | instid1(SALU_CYCLE_1)
	s_mul_hi_u32 s6, s2, s6
	s_add_co_i32 s2, s2, s6
	s_cmp_eq_u32 s5, 0
	s_load_b128 s[4:7], s[0:1], 0x38
	s_cselect_b32 s3, ttmp9, s3
	s_delay_alu instid0(SALU_CYCLE_1) | instskip(NEXT) | instid1(SALU_CYCLE_1)
	s_mul_hi_u32 s2, s3, s2
	s_mul_i32 s12, s2, s24
	s_add_co_i32 s13, s2, 1
	s_sub_co_i32 s12, s3, s12
	s_delay_alu instid0(SALU_CYCLE_1)
	s_sub_co_i32 s14, s12, s24
	s_cmp_ge_u32 s12, s24
	s_cselect_b32 s2, s13, s2
	s_cselect_b32 s12, s14, s12
	s_add_co_i32 s13, s2, 1
	s_cmp_ge_u32 s12, s24
	s_cselect_b32 s19, s13, s2
	s_delay_alu instid0(SALU_CYCLE_1) | instskip(SKIP_4) | instid1(SALU_CYCLE_1)
	s_mul_i32 s15, s19, s24
	s_lshl_b32 s19, s19, 4
	s_sub_co_i32 s2, s3, s15
	v_or_b32_e32 v1, s19, v4
	s_ashr_i32 s3, s2, 31
	s_lshl_b64 s[12:13], s[2:3], 2
	s_load_b64 s[2:3], s[0:1], 0x48
	s_wait_kmcnt 0x0
	s_add_nc_u64 s[6:7], s[6:7], s[12:13]
	v_cmp_gt_i32_e32 vcc_lo, s25, v1
	s_load_b32 s6, s[6:7], 0x0
	s_wait_kmcnt 0x0
	s_ashr_i32 s7, s6, 31
	s_delay_alu instid0(SALU_CYCLE_1) | instskip(NEXT) | instid1(SALU_CYCLE_1)
	s_lshl_b64 s[12:13], s[6:7], 2
	s_add_nc_u64 s[26:27], s[8:9], s[12:13]
	s_load_b96 s[12:14], s[0:1], 0x50
	s_load_b64 s[8:9], s[26:27], 0x0
	s_clause 0x1
	s_load_b96 s[16:18], s[0:1], 0x18
	s_load_b96 s[20:22], s[0:1], 0x28
	s_wait_xcnt 0x0
	v_cmp_eq_u32_e64 s0, 0, v0
	s_wait_kmcnt 0x0
	s_sub_co_i32 s23, s8, s12
	s_cmp_ge_i32 s8, s9
	s_mul_i32 s7, s6, s18
	s_mul_i32 s26, s18, s18
	s_cbranch_scc1 .LBB39_18
; %bb.1:
	v_mad_u32 v2, s18, s23, v5
	v_cmp_gt_i32_e64 s1, s18, v5
	s_sub_co_i32 s27, s9, s12
	v_mov_b32_e32 v7, 0
	s_cmp_lg_u32 s14, 0
	s_mul_i32 s30, s22, s18
	s_cselect_b32 s28, -1, 0
	s_and_b32 s1, vcc_lo, s1
	s_lshl_b32 s31, s18, 2
	v_mul_lo_u32 v6, s18, v2
	s_branch .LBB39_3
.LBB39_2:                               ;   in Loop: Header=BB39_3 Depth=1
                                        ; implicit-def: $vgpr6
	s_and_b32 vcc_lo, exec_lo, s8
	s_cbranch_vccnz .LBB39_19
.LBB39_3:                               ; =>This Loop Header: Depth=1
                                        ;     Child Loop BB39_7 Depth 2
                                        ;     Child Loop BB39_11 Depth 2
                                        ;       Child Loop BB39_13 Depth 3
	s_wait_xcnt 0x0
	v_mov_b32_e32 v2, s23
	global_load_b32 v2, v2, s[10:11] scale_offset
	s_wait_loadcnt 0x0
	v_readfirstlane_b32 s8, v2
	s_sub_co_i32 s29, s8, s12
	s_mov_b32 s8, -1
	s_cmp_ge_i32 s29, s6
	s_cbranch_scc1 .LBB39_2
; %bb.4:                                ;   in Loop: Header=BB39_3 Depth=1
	s_wait_xcnt 0x0
	s_and_saveexec_b32 s33, s0
	s_cbranch_execz .LBB39_8
; %bb.5:                                ;   in Loop: Header=BB39_3 Depth=1
	s_add_co_i32 s8, s29, s15
	s_delay_alu instid0(SALU_CYCLE_1)
	v_mov_b32_e32 v2, s8
	global_load_b32 v2, v2, s[4:5] scale_offset scope:SCOPE_DEV
	s_wait_loadcnt 0x0
	v_cmp_ne_u32_e32 vcc_lo, 0, v2
	s_cbranch_vccnz .LBB39_8
; %bb.6:                                ;   in Loop: Header=BB39_3 Depth=1
	s_ashr_i32 s9, s8, 31
	s_delay_alu instid0(SALU_CYCLE_1) | instskip(NEXT) | instid1(SALU_CYCLE_1)
	s_lshl_b64 s[8:9], s[8:9], 2
	s_add_nc_u64 s[8:9], s[4:5], s[8:9]
.LBB39_7:                               ;   Parent Loop BB39_3 Depth=1
                                        ; =>  This Inner Loop Header: Depth=2
	global_load_b32 v2, v7, s[8:9] scope:SCOPE_DEV
	s_wait_loadcnt 0x0
	v_cmp_eq_u32_e32 vcc_lo, 0, v2
	s_cbranch_vccnz .LBB39_7
.LBB39_8:                               ;   in Loop: Header=BB39_3 Depth=1
	s_wait_xcnt 0x0
	s_or_b32 exec_lo, exec_lo, s33
	global_wb scope:SCOPE_DEV
	s_wait_storecnt 0x0
	global_inv scope:SCOPE_DEV
	s_wait_loadcnt 0x0
	s_barrier_signal -1
	s_barrier_wait -1
	s_and_saveexec_b32 s8, s1
	s_cbranch_execz .LBB39_17
; %bb.9:                                ;   in Loop: Header=BB39_3 Depth=1
	v_mad_u32 v8, s30, s29, v1
	v_dual_mov_b32 v9, v6 :: v_dual_mov_b32 v10, v5
	s_mul_i32 s9, s23, s18
	s_mov_b32 s33, 0
	s_branch .LBB39_11
.LBB39_10:                              ;   in Loop: Header=BB39_11 Depth=2
	v_dual_add_nc_u32 v11, s7, v10 :: v_dual_add_nc_u32 v10, 4, v10
	v_add_nc_u32_e32 v9, s31, v9
	s_delay_alu instid0(VALU_DEP_2) | instskip(NEXT) | instid1(VALU_DEP_3)
	v_mad_u32 v11, v11, s22, v1
	v_cmp_le_i32_e32 vcc_lo, s18, v10
	s_or_b32 s33, vcc_lo, s33
	global_load_b64 v[12:13], v11, s[20:21] scale_offset
	s_wait_loadcnt 0x0
	v_pk_add_f32 v[2:3], v[12:13], v[2:3] neg_lo:[0,1] neg_hi:[0,1]
	global_store_b64 v11, v[2:3], s[20:21] scale_offset
	s_wait_xcnt 0x0
	s_and_not1_b32 exec_lo, exec_lo, s33
	s_cbranch_execz .LBB39_17
.LBB39_11:                              ;   Parent Loop BB39_3 Depth=1
                                        ; =>  This Loop Header: Depth=2
                                        ;       Child Loop BB39_13 Depth 3
	s_delay_alu instid0(VALU_DEP_2) | instskip(SKIP_1) | instid1(VALU_DEP_1)
	v_dual_mov_b32 v2, 0 :: v_dual_mov_b32 v11, v8
	s_mov_b32 s34, 0
	v_mov_b32_e32 v3, v2
	s_branch .LBB39_13
.LBB39_12:                              ;   in Loop: Header=BB39_13 Depth=3
	global_load_b64 v[14:15], v11, s[20:21] scale_offset
	global_load_b64 v[16:17], v12, s[16:17] scale_offset
	s_wait_xcnt 0x1
	v_add_nc_u32_e32 v11, s22, v11
	s_add_co_i32 s34, s34, 1
	s_delay_alu instid0(SALU_CYCLE_1) | instskip(SKIP_2) | instid1(VALU_DEP_1)
	s_cmp_eq_u32 s18, s34
	s_wait_loadcnt 0x0
	v_pk_fma_f32 v[2:3], v[16:17], v[14:15], v[2:3] op_sel_hi:[1,0,1]
	v_pk_fma_f32 v[2:3], v[16:17], v[14:15], v[2:3] op_sel:[1,1,0] op_sel_hi:[0,1,1] neg_lo:[1,0,0]
	s_cbranch_scc1 .LBB39_10
.LBB39_13:                              ;   Parent Loop BB39_3 Depth=1
                                        ;     Parent Loop BB39_11 Depth=2
                                        ; =>    This Inner Loop Header: Depth=3
	s_and_b32 vcc_lo, exec_lo, s28
	s_cbranch_vccz .LBB39_15
; %bb.14:                               ;   in Loop: Header=BB39_13 Depth=3
	s_add_co_i32 s35, s34, s9
	s_wait_xcnt 0x0
	v_mad_u32 v12, s35, s18, v10
	s_cbranch_execnz .LBB39_12
	s_branch .LBB39_16
.LBB39_15:                              ;   in Loop: Header=BB39_13 Depth=3
                                        ; implicit-def: $vgpr12
.LBB39_16:                              ;   in Loop: Header=BB39_13 Depth=3
	s_wait_xcnt 0x0
	v_add_nc_u32_e32 v12, s34, v9
	s_branch .LBB39_12
.LBB39_17:                              ;   in Loop: Header=BB39_3 Depth=1
	s_or_b32 exec_lo, exec_lo, s8
	s_add_co_i32 s23, s23, 1
	v_add_nc_u32_e32 v6, s26, v6
	s_cmp_ge_i32 s23, s27
	s_cselect_b32 s8, -1, 0
	s_delay_alu instid0(SALU_CYCLE_1)
	s_and_b32 vcc_lo, exec_lo, s8
	s_cbranch_vccz .LBB39_3
	s_branch .LBB39_19
.LBB39_18:
	s_mov_b32 s29, s24
.LBB39_19:
	s_cmp_lt_i32 s6, s24
	v_cmp_gt_i32_e32 vcc_lo, s25, v1
	s_cselect_b32 s1, -1, 0
	s_cmp_eq_u32 s6, s29
	s_cselect_b32 s0, -1, 0
	s_delay_alu instid0(SALU_CYCLE_1) | instskip(SKIP_2) | instid1(SALU_CYCLE_1)
	s_and_b32 s0, vcc_lo, s0
	s_cmp_gt_i32 s18, 0
	s_cselect_b32 s8, -1, 0
	s_and_b32 s8, s0, s8
	s_mov_b32 s0, 0
	s_and_b32 s9, s8, s1
	s_wait_xcnt 0x0
	s_and_saveexec_b32 s8, s9
	s_cbranch_execz .LBB39_35
; %bb.20:
	v_dual_add_nc_u32 v2, s7, v5 :: v_dual_add_nc_u32 v8, 1, v5
	s_cmp_eq_u32 s13, 0
	s_mov_b32 s9, 0
	s_cselect_b32 s10, -1, 0
	s_delay_alu instid0(VALU_DEP_1)
	v_mad_u32 v2, s22, v2, s22
	s_cmp_lg_u32 s14, 0
	s_mul_i32 s11, s23, s18
	s_cselect_b32 s13, -1, 0
	s_lshl_b32 s14, s22, 2
	s_mov_b32 s24, 0
	s_delay_alu instid0(VALU_DEP_1)
	v_add3_u32 v9, v4, v2, s19
	s_mul_i32 s19, s23, s26
	s_add_co_i32 s23, s18, 1
	s_branch .LBB39_22
.LBB39_21:                              ;   in Loop: Header=BB39_22 Depth=1
	s_or_b32 exec_lo, exec_lo, s0
	v_add_nc_u32_e32 v9, s22, v9
	s_add_co_i32 s9, s9, 1
	s_add_co_i32 s19, s19, s23
	s_cmp_eq_u32 s9, s18
	s_cbranch_scc1 .LBB39_34
.LBB39_22:                              ; =>This Loop Header: Depth=1
                                        ;     Child Loop BB39_30 Depth 2
	s_and_not1_b32 vcc_lo, exec_lo, s10
	s_cbranch_vccz .LBB39_24
; %bb.23:                               ;   in Loop: Header=BB39_22 Depth=1
	v_dual_mov_b32 v4, 1.0 :: v_dual_mov_b32 v5, 0
	s_branch .LBB39_25
.LBB39_24:                              ;   in Loop: Header=BB39_22 Depth=1
	s_add_co_i32 s0, s9, s11
	s_delay_alu instid0(SALU_CYCLE_1) | instskip(NEXT) | instid1(SALU_CYCLE_1)
	s_mul_i32 s0, s0, s18
	s_add_co_i32 s0, s0, s9
	s_wait_loadcnt 0x0
	v_mov_b32_e32 v2, s0
	global_load_b64 v[4:5], v2, s[16:17] scale_offset
.LBB39_25:                              ;   in Loop: Header=BB39_22 Depth=1
	s_add_co_i32 s0, s9, s7
	s_wait_loadcnt 0x0
	s_delay_alu instid0(VALU_DEP_1) | instskip(SKIP_3) | instid1(SALU_CYCLE_1)
	v_cmp_eq_f32_e32 vcc_lo, 0, v4
	v_mad_u32 v6, s0, s22, v1
	v_cmp_eq_f32_e64 s0, 0, v5
	s_and_b32 s0, vcc_lo, s0
	s_and_b32 vcc_lo, exec_lo, s0
	global_load_b64 v[2:3], v6, s[20:21] scale_offset
	s_cbranch_vccnz .LBB39_27
; %bb.26:                               ;   in Loop: Header=BB39_22 Depth=1
	v_mul_f32_e32 v12, v5, v5
	s_delay_alu instid0(VALU_DEP_1) | instskip(NEXT) | instid1(VALU_DEP_1)
	v_fmac_f32_e32 v12, v4, v4
	v_div_scale_f32 v7, null, v12, v12, 1.0
	v_div_scale_f32 v13, vcc_lo, 1.0, v12, 1.0
	s_delay_alu instid0(VALU_DEP_2)
	v_rcp_f32_e32 v11, v7
	v_nop
	v_xor_b32_e32 v7, 0x80000000, v7
	s_delay_alu instid0(TRANS32_DEP_1) | instid1(VALU_DEP_1)
	v_fma_f32 v10, v7, v11, 1.0
	s_delay_alu instid0(VALU_DEP_1) | instskip(NEXT) | instid1(VALU_DEP_1)
	v_fmac_f32_e32 v11, v10, v11
	v_mul_f32_e32 v14, v13, v11
	s_delay_alu instid0(VALU_DEP_1) | instskip(NEXT) | instid1(VALU_DEP_1)
	v_fma_f32 v10, v7, v14, v13
	v_dual_fmac_f32 v14, v10, v11 :: v_dual_mov_b32 v10, v5
	s_delay_alu instid0(VALU_DEP_1) | instskip(SKIP_1) | instid1(VALU_DEP_2)
	v_fmac_f32_e32 v13, v7, v14
	v_ashrrev_i32_e32 v7, 31, v6
	v_div_fmas_f32 v5, v13, v11, v14
	s_wait_loadcnt 0x0
	v_pk_mul_f32 v[10:11], v[10:11], v[2:3] op_sel:[0,1] op_sel_hi:[0,0] neg_hi:[0,1]
	s_delay_alu instid0(VALU_DEP_2) | instskip(NEXT) | instid1(VALU_DEP_2)
	v_div_fixup_f32 v12, v5, v12, 1.0
	v_pk_fma_f32 v[2:3], v[2:3], v[4:5], v[10:11] op_sel_hi:[1,0,1]
	v_lshl_add_u64 v[4:5], v[6:7], 3, s[20:21]
	s_delay_alu instid0(VALU_DEP_2)
	v_pk_mul_f32 v[2:3], v[12:13], v[2:3] op_sel_hi:[0,1]
	global_store_b64 v[4:5], v[2:3], off
	s_wait_xcnt 0x1
	v_add_nc_u32_e32 v6, s9, v8
	s_mov_b32 s0, exec_lo
	s_wait_xcnt 0x0
	s_delay_alu instid0(VALU_DEP_1)
	v_cmpx_gt_i32_e64 s18, v6
	s_cbranch_execz .LBB39_21
	s_branch .LBB39_28
.LBB39_27:                              ;   in Loop: Header=BB39_22 Depth=1
	s_mov_b32 s24, -1
	s_wait_xcnt 0x0
	v_add_nc_u32_e32 v6, s9, v8
	s_mov_b32 s0, exec_lo
	s_delay_alu instid0(VALU_DEP_1)
	v_cmpx_gt_i32_e64 s18, v6
	s_cbranch_execz .LBB39_21
.LBB39_28:                              ;   in Loop: Header=BB39_22 Depth=1
	s_wait_loadcnt 0x0
	v_xor_b32_e32 v4, 0x80000000, v3
	v_dual_mov_b32 v5, v2 :: v_dual_mov_b32 v7, v9
	v_mov_b32_e32 v10, v8
	s_mov_b32 s25, 0
	s_branch .LBB39_30
.LBB39_29:                              ;   in Loop: Header=BB39_30 Depth=2
	global_load_b64 v[12:13], v11, s[16:17] scale_offset
	global_load_b64 v[14:15], v7, s[20:21] scale_offset
	v_add_nc_u32_e32 v10, 4, v10
	v_add_nc_u32_e32 v6, 4, v6
	s_wait_loadcnt 0x1
	v_pk_mul_f32 v[16:17], v[12:13], v[4:5] op_sel:[1,0]
	s_delay_alu instid0(VALU_DEP_1) | instskip(SKIP_1) | instid1(VALU_DEP_1)
	v_pk_fma_f32 v[12:13], v[2:3], v[12:13], v[16:17] op_sel_hi:[1,0,1]
	s_wait_loadcnt 0x0
	v_pk_add_f32 v[12:13], v[14:15], v[12:13] neg_lo:[0,1] neg_hi:[0,1]
	global_store_b64 v7, v[12:13], s[20:21] scale_offset
	s_wait_xcnt 0x0
	v_dual_add_nc_u32 v7, s14, v7 :: v_dual_add_nc_u32 v11, s9, v10
	s_delay_alu instid0(VALU_DEP_1) | instskip(SKIP_1) | instid1(SALU_CYCLE_1)
	v_cmp_le_i32_e32 vcc_lo, s18, v11
	s_or_b32 s25, vcc_lo, s25
	s_and_not1_b32 exec_lo, exec_lo, s25
	s_cbranch_execz .LBB39_21
.LBB39_30:                              ;   Parent Loop BB39_22 Depth=1
                                        ; =>  This Inner Loop Header: Depth=2
	s_and_b32 vcc_lo, exec_lo, s13
	s_cbranch_vccz .LBB39_32
; %bb.31:                               ;   in Loop: Header=BB39_30 Depth=2
	v_add_nc_u32_e32 v11, s19, v10
	s_cbranch_execnz .LBB39_29
	s_branch .LBB39_33
.LBB39_32:                              ;   in Loop: Header=BB39_30 Depth=2
                                        ; implicit-def: $vgpr11
.LBB39_33:                              ;   in Loop: Header=BB39_30 Depth=2
	v_add_nc_u32_e32 v11, s11, v6
	s_delay_alu instid0(VALU_DEP_1)
	v_mad_u32 v11, v11, s18, s9
	s_branch .LBB39_29
.LBB39_34:
	s_and_b32 s0, s24, exec_lo
.LBB39_35:
	s_or_b32 exec_lo, exec_lo, s8
	v_cmp_eq_u32_e32 vcc_lo, 0, v0
	global_wb scope:SCOPE_DEV
	s_wait_loadcnt 0x0
	s_wait_storecnt 0x0
	global_inv scope:SCOPE_DEV
	s_wait_loadcnt 0x0
	s_barrier_signal -1
	s_barrier_wait -1
	s_and_b32 s1, vcc_lo, s1
	s_delay_alu instid0(SALU_CYCLE_1)
	s_and_saveexec_b32 s7, s1
	s_cbranch_execz .LBB39_39
; %bb.36:
	s_add_co_i32 s1, s6, s15
	s_delay_alu instid0(SALU_CYCLE_1)
	v_dual_mov_b32 v0, 1 :: v_dual_mov_b32 v1, s1
	global_store_b32 v1, v0, s[4:5] scale_offset scope:SCOPE_DEV
	s_wait_xcnt 0x0
	s_and_b32 exec_lo, exec_lo, s0
	s_cbranch_execz .LBB39_39
; %bb.37:
	v_mbcnt_lo_u32_b32 v0, exec_lo, 0
	s_delay_alu instid0(VALU_DEP_1)
	v_cmp_eq_u32_e32 vcc_lo, 0, v0
	s_and_b32 exec_lo, exec_lo, vcc_lo
	s_cbranch_execz .LBB39_39
; %bb.38:
	s_add_co_i32 s0, s6, s12
	s_delay_alu instid0(SALU_CYCLE_1)
	v_dual_mov_b32 v0, 0 :: v_dual_mov_b32 v1, s0
	global_atomic_min_i32 v0, v1, s[2:3] scope:SCOPE_DEV
.LBB39_39:
	s_endpgm
	.section	.rodata,"a",@progbits
	.p2align	6, 0x0
	.amdhsa_kernel _ZN9rocsparseL24bsrsm_lower_large_kernelILj64ELj16ELb0E21rocsparse_complex_numIfEEEviiPKiS4_PKT2_iPS5_iPiS4_S9_21rocsparse_index_base_20rocsparse_diag_type_20rocsparse_direction_
		.amdhsa_group_segment_fixed_size 0
		.amdhsa_private_segment_fixed_size 0
		.amdhsa_kernarg_size 92
		.amdhsa_user_sgpr_count 2
		.amdhsa_user_sgpr_dispatch_ptr 0
		.amdhsa_user_sgpr_queue_ptr 0
		.amdhsa_user_sgpr_kernarg_segment_ptr 1
		.amdhsa_user_sgpr_dispatch_id 0
		.amdhsa_user_sgpr_kernarg_preload_length 0
		.amdhsa_user_sgpr_kernarg_preload_offset 0
		.amdhsa_user_sgpr_private_segment_size 0
		.amdhsa_wavefront_size32 1
		.amdhsa_uses_dynamic_stack 0
		.amdhsa_enable_private_segment 0
		.amdhsa_system_sgpr_workgroup_id_x 1
		.amdhsa_system_sgpr_workgroup_id_y 0
		.amdhsa_system_sgpr_workgroup_id_z 0
		.amdhsa_system_sgpr_workgroup_info 0
		.amdhsa_system_vgpr_workitem_id 0
		.amdhsa_next_free_vgpr 18
		.amdhsa_next_free_sgpr 36
		.amdhsa_named_barrier_count 0
		.amdhsa_reserve_vcc 1
		.amdhsa_float_round_mode_32 0
		.amdhsa_float_round_mode_16_64 0
		.amdhsa_float_denorm_mode_32 3
		.amdhsa_float_denorm_mode_16_64 3
		.amdhsa_fp16_overflow 0
		.amdhsa_memory_ordered 1
		.amdhsa_forward_progress 1
		.amdhsa_inst_pref_size 14
		.amdhsa_round_robin_scheduling 0
		.amdhsa_exception_fp_ieee_invalid_op 0
		.amdhsa_exception_fp_denorm_src 0
		.amdhsa_exception_fp_ieee_div_zero 0
		.amdhsa_exception_fp_ieee_overflow 0
		.amdhsa_exception_fp_ieee_underflow 0
		.amdhsa_exception_fp_ieee_inexact 0
		.amdhsa_exception_int_div_zero 0
	.end_amdhsa_kernel
	.section	.text._ZN9rocsparseL24bsrsm_lower_large_kernelILj64ELj16ELb0E21rocsparse_complex_numIfEEEviiPKiS4_PKT2_iPS5_iPiS4_S9_21rocsparse_index_base_20rocsparse_diag_type_20rocsparse_direction_,"axG",@progbits,_ZN9rocsparseL24bsrsm_lower_large_kernelILj64ELj16ELb0E21rocsparse_complex_numIfEEEviiPKiS4_PKT2_iPS5_iPiS4_S9_21rocsparse_index_base_20rocsparse_diag_type_20rocsparse_direction_,comdat
.Lfunc_end39:
	.size	_ZN9rocsparseL24bsrsm_lower_large_kernelILj64ELj16ELb0E21rocsparse_complex_numIfEEEviiPKiS4_PKT2_iPS5_iPiS4_S9_21rocsparse_index_base_20rocsparse_diag_type_20rocsparse_direction_, .Lfunc_end39-_ZN9rocsparseL24bsrsm_lower_large_kernelILj64ELj16ELb0E21rocsparse_complex_numIfEEEviiPKiS4_PKT2_iPS5_iPiS4_S9_21rocsparse_index_base_20rocsparse_diag_type_20rocsparse_direction_
                                        ; -- End function
	.set _ZN9rocsparseL24bsrsm_lower_large_kernelILj64ELj16ELb0E21rocsparse_complex_numIfEEEviiPKiS4_PKT2_iPS5_iPiS4_S9_21rocsparse_index_base_20rocsparse_diag_type_20rocsparse_direction_.num_vgpr, 18
	.set _ZN9rocsparseL24bsrsm_lower_large_kernelILj64ELj16ELb0E21rocsparse_complex_numIfEEEviiPKiS4_PKT2_iPS5_iPiS4_S9_21rocsparse_index_base_20rocsparse_diag_type_20rocsparse_direction_.num_agpr, 0
	.set _ZN9rocsparseL24bsrsm_lower_large_kernelILj64ELj16ELb0E21rocsparse_complex_numIfEEEviiPKiS4_PKT2_iPS5_iPiS4_S9_21rocsparse_index_base_20rocsparse_diag_type_20rocsparse_direction_.numbered_sgpr, 36
	.set _ZN9rocsparseL24bsrsm_lower_large_kernelILj64ELj16ELb0E21rocsparse_complex_numIfEEEviiPKiS4_PKT2_iPS5_iPiS4_S9_21rocsparse_index_base_20rocsparse_diag_type_20rocsparse_direction_.num_named_barrier, 0
	.set _ZN9rocsparseL24bsrsm_lower_large_kernelILj64ELj16ELb0E21rocsparse_complex_numIfEEEviiPKiS4_PKT2_iPS5_iPiS4_S9_21rocsparse_index_base_20rocsparse_diag_type_20rocsparse_direction_.private_seg_size, 0
	.set _ZN9rocsparseL24bsrsm_lower_large_kernelILj64ELj16ELb0E21rocsparse_complex_numIfEEEviiPKiS4_PKT2_iPS5_iPiS4_S9_21rocsparse_index_base_20rocsparse_diag_type_20rocsparse_direction_.uses_vcc, 1
	.set _ZN9rocsparseL24bsrsm_lower_large_kernelILj64ELj16ELb0E21rocsparse_complex_numIfEEEviiPKiS4_PKT2_iPS5_iPiS4_S9_21rocsparse_index_base_20rocsparse_diag_type_20rocsparse_direction_.uses_flat_scratch, 0
	.set _ZN9rocsparseL24bsrsm_lower_large_kernelILj64ELj16ELb0E21rocsparse_complex_numIfEEEviiPKiS4_PKT2_iPS5_iPiS4_S9_21rocsparse_index_base_20rocsparse_diag_type_20rocsparse_direction_.has_dyn_sized_stack, 0
	.set _ZN9rocsparseL24bsrsm_lower_large_kernelILj64ELj16ELb0E21rocsparse_complex_numIfEEEviiPKiS4_PKT2_iPS5_iPiS4_S9_21rocsparse_index_base_20rocsparse_diag_type_20rocsparse_direction_.has_recursion, 0
	.set _ZN9rocsparseL24bsrsm_lower_large_kernelILj64ELj16ELb0E21rocsparse_complex_numIfEEEviiPKiS4_PKT2_iPS5_iPiS4_S9_21rocsparse_index_base_20rocsparse_diag_type_20rocsparse_direction_.has_indirect_call, 0
	.section	.AMDGPU.csdata,"",@progbits
; Kernel info:
; codeLenInByte = 1760
; TotalNumSgprs: 38
; NumVgprs: 18
; ScratchSize: 0
; MemoryBound: 0
; FloatMode: 240
; IeeeMode: 1
; LDSByteSize: 0 bytes/workgroup (compile time only)
; SGPRBlocks: 0
; VGPRBlocks: 1
; NumSGPRsForWavesPerEU: 38
; NumVGPRsForWavesPerEU: 18
; NamedBarCnt: 0
; Occupancy: 16
; WaveLimiterHint : 1
; COMPUTE_PGM_RSRC2:SCRATCH_EN: 0
; COMPUTE_PGM_RSRC2:USER_SGPR: 2
; COMPUTE_PGM_RSRC2:TRAP_HANDLER: 0
; COMPUTE_PGM_RSRC2:TGID_X_EN: 1
; COMPUTE_PGM_RSRC2:TGID_Y_EN: 0
; COMPUTE_PGM_RSRC2:TGID_Z_EN: 0
; COMPUTE_PGM_RSRC2:TIDIG_COMP_CNT: 0
	.section	.text._ZN9rocsparseL24bsrsm_upper_large_kernelILj128ELj16ELb0E21rocsparse_complex_numIfEEEviiPKiS4_PKT2_iPS5_iPiS4_S9_21rocsparse_index_base_20rocsparse_diag_type_20rocsparse_direction_,"axG",@progbits,_ZN9rocsparseL24bsrsm_upper_large_kernelILj128ELj16ELb0E21rocsparse_complex_numIfEEEviiPKiS4_PKT2_iPS5_iPiS4_S9_21rocsparse_index_base_20rocsparse_diag_type_20rocsparse_direction_,comdat
	.globl	_ZN9rocsparseL24bsrsm_upper_large_kernelILj128ELj16ELb0E21rocsparse_complex_numIfEEEviiPKiS4_PKT2_iPS5_iPiS4_S9_21rocsparse_index_base_20rocsparse_diag_type_20rocsparse_direction_ ; -- Begin function _ZN9rocsparseL24bsrsm_upper_large_kernelILj128ELj16ELb0E21rocsparse_complex_numIfEEEviiPKiS4_PKT2_iPS5_iPiS4_S9_21rocsparse_index_base_20rocsparse_diag_type_20rocsparse_direction_
	.p2align	8
	.type	_ZN9rocsparseL24bsrsm_upper_large_kernelILj128ELj16ELb0E21rocsparse_complex_numIfEEEviiPKiS4_PKT2_iPS5_iPiS4_S9_21rocsparse_index_base_20rocsparse_diag_type_20rocsparse_direction_,@function
_ZN9rocsparseL24bsrsm_upper_large_kernelILj128ELj16ELb0E21rocsparse_complex_numIfEEEviiPKiS4_PKT2_iPS5_iPiS4_S9_21rocsparse_index_base_20rocsparse_diag_type_20rocsparse_direction_: ; @_ZN9rocsparseL24bsrsm_upper_large_kernelILj128ELj16ELb0E21rocsparse_complex_numIfEEEviiPKiS4_PKT2_iPS5_iPiS4_S9_21rocsparse_index_base_20rocsparse_diag_type_20rocsparse_direction_
; %bb.0:
	s_clause 0x1
	s_load_b64 s[24:25], s[0:1], 0x0
	s_load_b128 s[8:11], s[0:1], 0x8
	s_bfe_u32 s4, ttmp6, 0x4000c
	s_and_b32 s3, ttmp6, 15
	s_add_co_i32 s4, s4, 1
	s_getreg_b32 s5, hwreg(HW_REG_IB_STS2, 6, 4)
	s_mul_i32 s4, ttmp9, s4
	v_dual_lshrrev_b32 v4, 3, v0 :: v_dual_bitop2_b32 v8, 7, v0 bitop3:0x40
	s_add_co_i32 s3, s3, s4
	s_wait_kmcnt 0x0
	s_cvt_f32_u32 s2, s24
	s_sub_co_i32 s6, 0, s24
	s_delay_alu instid0(SALU_CYCLE_2) | instskip(SKIP_1) | instid1(TRANS32_DEP_1)
	v_rcp_iflag_f32_e32 v1, s2
	v_nop
	v_readfirstlane_b32 s2, v1
	s_mul_f32 s2, s2, 0x4f7ffffe
	s_delay_alu instid0(SALU_CYCLE_3) | instskip(NEXT) | instid1(SALU_CYCLE_3)
	s_cvt_u32_f32 s2, s2
	s_mul_i32 s6, s6, s2
	s_delay_alu instid0(SALU_CYCLE_1) | instskip(NEXT) | instid1(SALU_CYCLE_1)
	s_mul_hi_u32 s6, s2, s6
	s_add_co_i32 s2, s2, s6
	s_cmp_eq_u32 s5, 0
	s_load_b128 s[4:7], s[0:1], 0x38
	s_cselect_b32 s3, ttmp9, s3
	s_delay_alu instid0(SALU_CYCLE_1) | instskip(NEXT) | instid1(SALU_CYCLE_1)
	s_mul_hi_u32 s2, s3, s2
	s_mul_i32 s12, s2, s24
	s_add_co_i32 s13, s2, 1
	s_sub_co_i32 s12, s3, s12
	s_delay_alu instid0(SALU_CYCLE_1)
	s_sub_co_i32 s14, s12, s24
	s_cmp_ge_u32 s12, s24
	s_cselect_b32 s2, s13, s2
	s_cselect_b32 s12, s14, s12
	s_add_co_i32 s13, s2, 1
	s_cmp_ge_u32 s12, s24
	s_cselect_b32 s19, s13, s2
	s_delay_alu instid0(SALU_CYCLE_1) | instskip(SKIP_4) | instid1(SALU_CYCLE_1)
	s_mul_i32 s15, s19, s24
	s_lshl_b32 s19, s19, 4
	s_sub_co_i32 s2, s3, s15
	v_or_b32_e32 v1, s19, v4
	s_ashr_i32 s3, s2, 31
	s_lshl_b64 s[12:13], s[2:3], 2
	s_load_b64 s[2:3], s[0:1], 0x48
	s_wait_kmcnt 0x0
	s_add_nc_u64 s[6:7], s[6:7], s[12:13]
	s_load_b96 s[12:14], s[0:1], 0x50
	v_cmp_gt_i32_e32 vcc_lo, s25, v1
	s_load_b32 s6, s[6:7], 0x0
	s_wait_kmcnt 0x0
	s_ashr_i32 s7, s6, 31
	s_delay_alu instid0(SALU_CYCLE_1) | instskip(NEXT) | instid1(SALU_CYCLE_1)
	s_lshl_b64 s[16:17], s[6:7], 2
	s_add_nc_u64 s[8:9], s[8:9], s[16:17]
	s_load_b64 s[26:27], s[8:9], 0x0
	s_clause 0x1
	s_load_b96 s[16:18], s[0:1], 0x18
	s_load_b96 s[20:22], s[0:1], 0x28
	s_wait_xcnt 0x0
	s_not_b32 s0, s12
	s_wait_kmcnt 0x0
	s_add_co_i32 s23, s27, s0
	v_cmp_eq_u32_e64 s0, 0, v0
	s_sub_co_i32 s26, s26, s12
	s_mul_i32 s7, s6, s18
	s_cmp_lt_i32 s23, s26
	s_cbranch_scc1 .LBB40_18
; %bb.1:
	v_mad_u32 v2, s18, s23, v8
	v_cmp_gt_i32_e64 s1, s18, v8
	v_mov_b32_e32 v6, 0
	s_cmp_lg_u32 s14, 0
	s_mul_i32 s29, s22, s18
	s_cselect_b32 s27, -1, 0
	s_and_b32 s1, vcc_lo, s1
	s_mul_i32 s30, s18, s18
	s_lshl_b32 s31, s18, 3
	v_mul_lo_u32 v5, s18, v2
	s_branch .LBB40_3
.LBB40_2:                               ;   in Loop: Header=BB40_3 Depth=1
                                        ; implicit-def: $vgpr5
	s_cbranch_execnz .LBB40_19
.LBB40_3:                               ; =>This Loop Header: Depth=1
                                        ;     Child Loop BB40_7 Depth 2
                                        ;     Child Loop BB40_11 Depth 2
                                        ;       Child Loop BB40_13 Depth 3
	s_wait_xcnt 0x0
	v_mov_b32_e32 v2, s23
	global_load_b32 v2, v2, s[10:11] scale_offset
	s_wait_loadcnt 0x0
	v_readfirstlane_b32 s8, v2
	s_sub_co_i32 s28, s8, s12
	s_delay_alu instid0(SALU_CYCLE_1)
	s_cmp_le_i32 s28, s6
	s_cbranch_scc1 .LBB40_2
; %bb.4:                                ;   in Loop: Header=BB40_3 Depth=1
	s_wait_xcnt 0x0
	s_and_saveexec_b32 s33, s0
	s_cbranch_execz .LBB40_8
; %bb.5:                                ;   in Loop: Header=BB40_3 Depth=1
	s_add_co_i32 s8, s28, s15
	s_delay_alu instid0(SALU_CYCLE_1)
	v_mov_b32_e32 v2, s8
	global_load_b32 v2, v2, s[4:5] scale_offset scope:SCOPE_DEV
	s_wait_loadcnt 0x0
	v_cmp_ne_u32_e32 vcc_lo, 0, v2
	s_cbranch_vccnz .LBB40_8
; %bb.6:                                ;   in Loop: Header=BB40_3 Depth=1
	s_ashr_i32 s9, s8, 31
	s_delay_alu instid0(SALU_CYCLE_1) | instskip(NEXT) | instid1(SALU_CYCLE_1)
	s_lshl_b64 s[8:9], s[8:9], 2
	s_add_nc_u64 s[8:9], s[4:5], s[8:9]
.LBB40_7:                               ;   Parent Loop BB40_3 Depth=1
                                        ; =>  This Inner Loop Header: Depth=2
	global_load_b32 v2, v6, s[8:9] scope:SCOPE_DEV
	s_wait_loadcnt 0x0
	v_cmp_eq_u32_e32 vcc_lo, 0, v2
	s_cbranch_vccnz .LBB40_7
.LBB40_8:                               ;   in Loop: Header=BB40_3 Depth=1
	s_wait_xcnt 0x0
	s_or_b32 exec_lo, exec_lo, s33
	global_wb scope:SCOPE_DEV
	s_wait_storecnt 0x0
	global_inv scope:SCOPE_DEV
	s_wait_loadcnt 0x0
	s_barrier_signal -1
	s_barrier_wait -1
	s_and_saveexec_b32 s8, s1
	s_cbranch_execz .LBB40_17
; %bb.9:                                ;   in Loop: Header=BB40_3 Depth=1
	v_mad_u32 v7, s29, s28, v1
	v_dual_mov_b32 v9, v5 :: v_dual_mov_b32 v10, v8
	s_mul_i32 s9, s23, s18
	s_mov_b32 s33, 0
	s_branch .LBB40_11
.LBB40_10:                              ;   in Loop: Header=BB40_11 Depth=2
	v_dual_add_nc_u32 v11, s7, v10 :: v_dual_add_nc_u32 v10, 8, v10
	v_add_nc_u32_e32 v9, s31, v9
	s_delay_alu instid0(VALU_DEP_2) | instskip(NEXT) | instid1(VALU_DEP_3)
	v_mad_u32 v11, v11, s22, v1
	v_cmp_le_i32_e32 vcc_lo, s18, v10
	s_or_b32 s33, vcc_lo, s33
	global_load_b64 v[12:13], v11, s[20:21] scale_offset
	s_wait_loadcnt 0x0
	v_pk_add_f32 v[2:3], v[12:13], v[2:3] neg_lo:[0,1] neg_hi:[0,1]
	global_store_b64 v11, v[2:3], s[20:21] scale_offset
	s_wait_xcnt 0x0
	s_and_not1_b32 exec_lo, exec_lo, s33
	s_cbranch_execz .LBB40_17
.LBB40_11:                              ;   Parent Loop BB40_3 Depth=1
                                        ; =>  This Loop Header: Depth=2
                                        ;       Child Loop BB40_13 Depth 3
	s_delay_alu instid0(VALU_DEP_2) | instskip(SKIP_1) | instid1(VALU_DEP_1)
	v_dual_mov_b32 v2, 0 :: v_dual_mov_b32 v11, v7
	s_mov_b32 s34, 0
	v_mov_b32_e32 v3, v2
	s_branch .LBB40_13
.LBB40_12:                              ;   in Loop: Header=BB40_13 Depth=3
	global_load_b64 v[14:15], v11, s[20:21] scale_offset
	global_load_b64 v[16:17], v12, s[16:17] scale_offset
	s_wait_xcnt 0x1
	v_add_nc_u32_e32 v11, s22, v11
	s_add_co_i32 s34, s34, 1
	s_delay_alu instid0(SALU_CYCLE_1) | instskip(SKIP_2) | instid1(VALU_DEP_1)
	s_cmp_eq_u32 s18, s34
	s_wait_loadcnt 0x0
	v_pk_fma_f32 v[2:3], v[16:17], v[14:15], v[2:3] op_sel_hi:[1,0,1]
	v_pk_fma_f32 v[2:3], v[16:17], v[14:15], v[2:3] op_sel:[1,1,0] op_sel_hi:[0,1,1] neg_lo:[1,0,0]
	s_cbranch_scc1 .LBB40_10
.LBB40_13:                              ;   Parent Loop BB40_3 Depth=1
                                        ;     Parent Loop BB40_11 Depth=2
                                        ; =>    This Inner Loop Header: Depth=3
	s_and_b32 vcc_lo, exec_lo, s27
	s_cbranch_vccz .LBB40_15
; %bb.14:                               ;   in Loop: Header=BB40_13 Depth=3
	s_add_co_i32 s35, s34, s9
	s_wait_xcnt 0x0
	v_mad_u32 v12, s35, s18, v10
	s_cbranch_execnz .LBB40_12
	s_branch .LBB40_16
.LBB40_15:                              ;   in Loop: Header=BB40_13 Depth=3
                                        ; implicit-def: $vgpr12
.LBB40_16:                              ;   in Loop: Header=BB40_13 Depth=3
	s_wait_xcnt 0x0
	v_add_nc_u32_e32 v12, s34, v9
	s_branch .LBB40_12
.LBB40_17:                              ;   in Loop: Header=BB40_3 Depth=1
	s_or_b32 exec_lo, exec_lo, s8
	s_add_co_i32 s9, s23, -1
	s_cmp_le_i32 s23, s26
	v_subrev_nc_u32_e32 v5, s30, v5
	s_cselect_b32 s8, -1, 0
	s_mov_b32 s23, s9
	s_and_b32 vcc_lo, exec_lo, s8
	s_cbranch_vccz .LBB40_3
	s_branch .LBB40_19
.LBB40_18:
	s_mov_b32 s28, s24
.LBB40_19:
	s_cmp_lt_i32 s6, s24
	v_cmp_gt_i32_e32 vcc_lo, s25, v1
	s_cselect_b32 s1, -1, 0
	s_cmp_eq_u32 s6, s28
	s_cselect_b32 s0, -1, 0
	s_delay_alu instid0(SALU_CYCLE_1) | instskip(SKIP_2) | instid1(SALU_CYCLE_1)
	s_and_b32 s0, vcc_lo, s0
	s_cmp_gt_i32 s18, 0
	s_cselect_b32 s8, -1, 0
	s_and_b32 s8, s0, s8
	s_mov_b32 s0, 0
	s_and_b32 s9, s8, s1
	s_wait_xcnt 0x0
	s_and_saveexec_b32 s8, s9
	s_cbranch_execz .LBB40_36
; %bb.20:
	v_add_nc_u32_e32 v2, s7, v8
	s_cmp_eq_u32 s13, 0
	s_mov_b32 s11, 0
	s_cselect_b32 s9, -1, 0
	s_cmp_lg_u32 s14, 0
	v_mul_lo_u32 v2, s22, v2
	s_cselect_b32 s10, -1, 0
	s_add_co_i32 s0, s23, 1
	s_mul_i32 s13, s23, s18
	s_mul_i32 s0, s18, s0
	s_lshl_b32 s14, s22, 3
	s_add_co_i32 s0, s0, -1
	s_mov_b32 s23, s18
	s_delay_alu instid0(VALU_DEP_1)
	v_add3_u32 v9, v4, v2, s19
	s_mul_i32 s19, s18, s0
	s_and_not1_b32 vcc_lo, exec_lo, s9
	s_add_co_i32 s24, s23, -1
	s_cbranch_vccz .LBB40_22
.LBB40_21:
	v_dual_mov_b32 v4, 1.0 :: v_dual_mov_b32 v5, 0
	s_branch .LBB40_23
.LBB40_22:
	s_add_co_i32 s0, s24, s13
	s_delay_alu instid0(SALU_CYCLE_1) | instskip(NEXT) | instid1(SALU_CYCLE_1)
	s_mul_i32 s0, s0, s18
	s_add_co_i32 s0, s0, s24
	s_wait_loadcnt 0x0
	v_mov_b32_e32 v2, s0
	global_load_b64 v[4:5], v2, s[16:17] scale_offset
.LBB40_23:
	s_add_co_i32 s0, s24, s7
	s_wait_loadcnt 0x0
	s_delay_alu instid0(VALU_DEP_1) | instskip(SKIP_3) | instid1(SALU_CYCLE_1)
	v_cmp_eq_f32_e32 vcc_lo, 0, v4
	v_mad_u32 v6, s0, s22, v1
	v_cmp_eq_f32_e64 s0, 0, v5
	s_and_b32 s0, vcc_lo, s0
	s_and_b32 vcc_lo, exec_lo, s0
	global_load_b64 v[2:3], v6, s[20:21] scale_offset
	s_cbranch_vccnz .LBB40_25
; %bb.24:
	v_mul_f32_e32 v12, v5, v5
	s_delay_alu instid0(VALU_DEP_1) | instskip(NEXT) | instid1(VALU_DEP_1)
	v_fmac_f32_e32 v12, v4, v4
	v_div_scale_f32 v7, null, v12, v12, 1.0
	v_div_scale_f32 v13, vcc_lo, 1.0, v12, 1.0
	s_delay_alu instid0(VALU_DEP_2)
	v_rcp_f32_e32 v11, v7
	v_nop
	v_xor_b32_e32 v7, 0x80000000, v7
	s_delay_alu instid0(TRANS32_DEP_1) | instid1(VALU_DEP_1)
	v_fma_f32 v10, v7, v11, 1.0
	s_delay_alu instid0(VALU_DEP_1) | instskip(NEXT) | instid1(VALU_DEP_1)
	v_fmac_f32_e32 v11, v10, v11
	v_mul_f32_e32 v14, v13, v11
	s_delay_alu instid0(VALU_DEP_1) | instskip(NEXT) | instid1(VALU_DEP_1)
	v_fma_f32 v10, v7, v14, v13
	v_dual_fmac_f32 v14, v10, v11 :: v_dual_mov_b32 v10, v5
	s_delay_alu instid0(VALU_DEP_1) | instskip(SKIP_1) | instid1(VALU_DEP_2)
	v_fmac_f32_e32 v13, v7, v14
	v_ashrrev_i32_e32 v7, 31, v6
	v_div_fmas_f32 v5, v13, v11, v14
	s_wait_loadcnt 0x0
	v_pk_mul_f32 v[10:11], v[10:11], v[2:3] op_sel:[0,1] op_sel_hi:[0,0] neg_hi:[0,1]
	s_delay_alu instid0(VALU_DEP_2) | instskip(NEXT) | instid1(VALU_DEP_2)
	v_div_fixup_f32 v12, v5, v12, 1.0
	v_pk_fma_f32 v[2:3], v[2:3], v[4:5], v[10:11] op_sel_hi:[1,0,1]
	v_lshl_add_u64 v[4:5], v[6:7], 3, s[20:21]
	s_delay_alu instid0(VALU_DEP_2)
	v_pk_mul_f32 v[2:3], v[12:13], v[2:3] op_sel_hi:[0,1]
	global_store_b64 v[4:5], v[2:3], off
	s_mov_b32 s0, exec_lo
	s_wait_xcnt 0x0
	v_cmpx_gt_i32_e64 s24, v8
	s_cbranch_execnz .LBB40_26
	s_branch .LBB40_32
.LBB40_25:
	s_mov_b32 s11, -1
	s_mov_b32 s0, exec_lo
	s_wait_xcnt 0x0
	v_cmpx_gt_i32_e64 s24, v8
	s_cbranch_execz .LBB40_32
.LBB40_26:
	s_wait_loadcnt 0x0
	v_xor_b32_e32 v4, 0x80000000, v3
	v_dual_mov_b32 v5, v2 :: v_dual_mov_b32 v6, v9
	v_mov_b32_e32 v7, v8
	s_mov_b32 s25, 0
	s_branch .LBB40_28
.LBB40_27:                              ;   in Loop: Header=BB40_28 Depth=1
	global_load_b64 v[12:13], v10, s[16:17] scale_offset
	global_load_b64 v[14:15], v6, s[20:21] scale_offset
	v_add_nc_u32_e32 v7, 8, v7
	s_wait_loadcnt 0x1
	s_wait_xcnt 0x1
	v_pk_mul_f32 v[10:11], v[12:13], v[4:5] op_sel:[1,0]
	s_delay_alu instid0(VALU_DEP_1) | instskip(SKIP_1) | instid1(VALU_DEP_1)
	v_pk_fma_f32 v[10:11], v[2:3], v[12:13], v[10:11] op_sel_hi:[1,0,1]
	s_wait_loadcnt 0x0
	v_pk_add_f32 v[10:11], v[14:15], v[10:11] neg_lo:[0,1] neg_hi:[0,1]
	global_store_b64 v6, v[10:11], s[20:21] scale_offset
	s_wait_xcnt 0x0
	v_add_nc_u32_e32 v6, s14, v6
	v_cmp_le_i32_e32 vcc_lo, s24, v7
	s_or_b32 s25, vcc_lo, s25
	s_delay_alu instid0(SALU_CYCLE_1)
	s_and_not1_b32 exec_lo, exec_lo, s25
	s_cbranch_execz .LBB40_32
.LBB40_28:                              ; =>This Inner Loop Header: Depth=1
	s_and_b32 vcc_lo, exec_lo, s10
	s_cbranch_vccz .LBB40_30
; %bb.29:                               ;   in Loop: Header=BB40_28 Depth=1
	v_add_nc_u32_e32 v10, s19, v7
	s_cbranch_execnz .LBB40_27
	s_branch .LBB40_31
.LBB40_30:                              ;   in Loop: Header=BB40_28 Depth=1
                                        ; implicit-def: $vgpr10
.LBB40_31:                              ;   in Loop: Header=BB40_28 Depth=1
	v_add_nc_u32_e32 v10, s13, v7
	s_delay_alu instid0(VALU_DEP_1)
	v_mad_u32 v10, v10, s18, s24
	s_branch .LBB40_27
.LBB40_32:
	s_or_b32 exec_lo, exec_lo, s0
; %bb.33:
	s_sub_co_i32 s19, s19, s18
	s_cmp_lt_i32 s23, 2
	s_cbranch_scc1 .LBB40_35
; %bb.34:
	s_mov_b32 s23, s24
	s_and_not1_b32 vcc_lo, exec_lo, s9
	s_add_co_i32 s24, s23, -1
	s_cbranch_vccnz .LBB40_21
	s_branch .LBB40_22
.LBB40_35:
	s_and_b32 s0, s11, exec_lo
.LBB40_36:
	s_or_b32 exec_lo, exec_lo, s8
	v_cmp_eq_u32_e32 vcc_lo, 0, v0
	global_wb scope:SCOPE_DEV
	s_wait_loadcnt 0x0
	s_wait_storecnt 0x0
	global_inv scope:SCOPE_DEV
	s_wait_loadcnt 0x0
	s_barrier_signal -1
	s_barrier_wait -1
	s_and_b32 s1, vcc_lo, s1
	s_delay_alu instid0(SALU_CYCLE_1)
	s_and_saveexec_b32 s7, s1
	s_cbranch_execz .LBB40_40
; %bb.37:
	s_add_co_i32 s1, s6, s15
	s_delay_alu instid0(SALU_CYCLE_1)
	v_dual_mov_b32 v0, 1 :: v_dual_mov_b32 v1, s1
	global_store_b32 v1, v0, s[4:5] scale_offset scope:SCOPE_DEV
	s_wait_xcnt 0x0
	s_and_b32 exec_lo, exec_lo, s0
	s_cbranch_execz .LBB40_40
; %bb.38:
	v_mbcnt_lo_u32_b32 v0, exec_lo, 0
	s_delay_alu instid0(VALU_DEP_1)
	v_cmp_eq_u32_e32 vcc_lo, 0, v0
	s_and_b32 exec_lo, exec_lo, vcc_lo
	s_cbranch_execz .LBB40_40
; %bb.39:
	s_add_co_i32 s0, s6, s12
	s_delay_alu instid0(SALU_CYCLE_1)
	v_dual_mov_b32 v0, 0 :: v_dual_mov_b32 v1, s0
	global_atomic_min_i32 v0, v1, s[2:3] scope:SCOPE_DEV
.LBB40_40:
	s_endpgm
	.section	.rodata,"a",@progbits
	.p2align	6, 0x0
	.amdhsa_kernel _ZN9rocsparseL24bsrsm_upper_large_kernelILj128ELj16ELb0E21rocsparse_complex_numIfEEEviiPKiS4_PKT2_iPS5_iPiS4_S9_21rocsparse_index_base_20rocsparse_diag_type_20rocsparse_direction_
		.amdhsa_group_segment_fixed_size 0
		.amdhsa_private_segment_fixed_size 0
		.amdhsa_kernarg_size 92
		.amdhsa_user_sgpr_count 2
		.amdhsa_user_sgpr_dispatch_ptr 0
		.amdhsa_user_sgpr_queue_ptr 0
		.amdhsa_user_sgpr_kernarg_segment_ptr 1
		.amdhsa_user_sgpr_dispatch_id 0
		.amdhsa_user_sgpr_kernarg_preload_length 0
		.amdhsa_user_sgpr_kernarg_preload_offset 0
		.amdhsa_user_sgpr_private_segment_size 0
		.amdhsa_wavefront_size32 1
		.amdhsa_uses_dynamic_stack 0
		.amdhsa_enable_private_segment 0
		.amdhsa_system_sgpr_workgroup_id_x 1
		.amdhsa_system_sgpr_workgroup_id_y 0
		.amdhsa_system_sgpr_workgroup_id_z 0
		.amdhsa_system_sgpr_workgroup_info 0
		.amdhsa_system_vgpr_workitem_id 0
		.amdhsa_next_free_vgpr 18
		.amdhsa_next_free_sgpr 36
		.amdhsa_named_barrier_count 0
		.amdhsa_reserve_vcc 1
		.amdhsa_float_round_mode_32 0
		.amdhsa_float_round_mode_16_64 0
		.amdhsa_float_denorm_mode_32 3
		.amdhsa_float_denorm_mode_16_64 3
		.amdhsa_fp16_overflow 0
		.amdhsa_memory_ordered 1
		.amdhsa_forward_progress 1
		.amdhsa_inst_pref_size 14
		.amdhsa_round_robin_scheduling 0
		.amdhsa_exception_fp_ieee_invalid_op 0
		.amdhsa_exception_fp_denorm_src 0
		.amdhsa_exception_fp_ieee_div_zero 0
		.amdhsa_exception_fp_ieee_overflow 0
		.amdhsa_exception_fp_ieee_underflow 0
		.amdhsa_exception_fp_ieee_inexact 0
		.amdhsa_exception_int_div_zero 0
	.end_amdhsa_kernel
	.section	.text._ZN9rocsparseL24bsrsm_upper_large_kernelILj128ELj16ELb0E21rocsparse_complex_numIfEEEviiPKiS4_PKT2_iPS5_iPiS4_S9_21rocsparse_index_base_20rocsparse_diag_type_20rocsparse_direction_,"axG",@progbits,_ZN9rocsparseL24bsrsm_upper_large_kernelILj128ELj16ELb0E21rocsparse_complex_numIfEEEviiPKiS4_PKT2_iPS5_iPiS4_S9_21rocsparse_index_base_20rocsparse_diag_type_20rocsparse_direction_,comdat
.Lfunc_end40:
	.size	_ZN9rocsparseL24bsrsm_upper_large_kernelILj128ELj16ELb0E21rocsparse_complex_numIfEEEviiPKiS4_PKT2_iPS5_iPiS4_S9_21rocsparse_index_base_20rocsparse_diag_type_20rocsparse_direction_, .Lfunc_end40-_ZN9rocsparseL24bsrsm_upper_large_kernelILj128ELj16ELb0E21rocsparse_complex_numIfEEEviiPKiS4_PKT2_iPS5_iPiS4_S9_21rocsparse_index_base_20rocsparse_diag_type_20rocsparse_direction_
                                        ; -- End function
	.set _ZN9rocsparseL24bsrsm_upper_large_kernelILj128ELj16ELb0E21rocsparse_complex_numIfEEEviiPKiS4_PKT2_iPS5_iPiS4_S9_21rocsparse_index_base_20rocsparse_diag_type_20rocsparse_direction_.num_vgpr, 18
	.set _ZN9rocsparseL24bsrsm_upper_large_kernelILj128ELj16ELb0E21rocsparse_complex_numIfEEEviiPKiS4_PKT2_iPS5_iPiS4_S9_21rocsparse_index_base_20rocsparse_diag_type_20rocsparse_direction_.num_agpr, 0
	.set _ZN9rocsparseL24bsrsm_upper_large_kernelILj128ELj16ELb0E21rocsparse_complex_numIfEEEviiPKiS4_PKT2_iPS5_iPiS4_S9_21rocsparse_index_base_20rocsparse_diag_type_20rocsparse_direction_.numbered_sgpr, 36
	.set _ZN9rocsparseL24bsrsm_upper_large_kernelILj128ELj16ELb0E21rocsparse_complex_numIfEEEviiPKiS4_PKT2_iPS5_iPiS4_S9_21rocsparse_index_base_20rocsparse_diag_type_20rocsparse_direction_.num_named_barrier, 0
	.set _ZN9rocsparseL24bsrsm_upper_large_kernelILj128ELj16ELb0E21rocsparse_complex_numIfEEEviiPKiS4_PKT2_iPS5_iPiS4_S9_21rocsparse_index_base_20rocsparse_diag_type_20rocsparse_direction_.private_seg_size, 0
	.set _ZN9rocsparseL24bsrsm_upper_large_kernelILj128ELj16ELb0E21rocsparse_complex_numIfEEEviiPKiS4_PKT2_iPS5_iPiS4_S9_21rocsparse_index_base_20rocsparse_diag_type_20rocsparse_direction_.uses_vcc, 1
	.set _ZN9rocsparseL24bsrsm_upper_large_kernelILj128ELj16ELb0E21rocsparse_complex_numIfEEEviiPKiS4_PKT2_iPS5_iPiS4_S9_21rocsparse_index_base_20rocsparse_diag_type_20rocsparse_direction_.uses_flat_scratch, 0
	.set _ZN9rocsparseL24bsrsm_upper_large_kernelILj128ELj16ELb0E21rocsparse_complex_numIfEEEviiPKiS4_PKT2_iPS5_iPiS4_S9_21rocsparse_index_base_20rocsparse_diag_type_20rocsparse_direction_.has_dyn_sized_stack, 0
	.set _ZN9rocsparseL24bsrsm_upper_large_kernelILj128ELj16ELb0E21rocsparse_complex_numIfEEEviiPKiS4_PKT2_iPS5_iPiS4_S9_21rocsparse_index_base_20rocsparse_diag_type_20rocsparse_direction_.has_recursion, 0
	.set _ZN9rocsparseL24bsrsm_upper_large_kernelILj128ELj16ELb0E21rocsparse_complex_numIfEEEviiPKiS4_PKT2_iPS5_iPiS4_S9_21rocsparse_index_base_20rocsparse_diag_type_20rocsparse_direction_.has_indirect_call, 0
	.section	.AMDGPU.csdata,"",@progbits
; Kernel info:
; codeLenInByte = 1736
; TotalNumSgprs: 38
; NumVgprs: 18
; ScratchSize: 0
; MemoryBound: 0
; FloatMode: 240
; IeeeMode: 1
; LDSByteSize: 0 bytes/workgroup (compile time only)
; SGPRBlocks: 0
; VGPRBlocks: 1
; NumSGPRsForWavesPerEU: 38
; NumVGPRsForWavesPerEU: 18
; NamedBarCnt: 0
; Occupancy: 16
; WaveLimiterHint : 1
; COMPUTE_PGM_RSRC2:SCRATCH_EN: 0
; COMPUTE_PGM_RSRC2:USER_SGPR: 2
; COMPUTE_PGM_RSRC2:TRAP_HANDLER: 0
; COMPUTE_PGM_RSRC2:TGID_X_EN: 1
; COMPUTE_PGM_RSRC2:TGID_Y_EN: 0
; COMPUTE_PGM_RSRC2:TGID_Z_EN: 0
; COMPUTE_PGM_RSRC2:TIDIG_COMP_CNT: 0
	.section	.text._ZN9rocsparseL24bsrsm_lower_large_kernelILj128ELj16ELb0E21rocsparse_complex_numIfEEEviiPKiS4_PKT2_iPS5_iPiS4_S9_21rocsparse_index_base_20rocsparse_diag_type_20rocsparse_direction_,"axG",@progbits,_ZN9rocsparseL24bsrsm_lower_large_kernelILj128ELj16ELb0E21rocsparse_complex_numIfEEEviiPKiS4_PKT2_iPS5_iPiS4_S9_21rocsparse_index_base_20rocsparse_diag_type_20rocsparse_direction_,comdat
	.globl	_ZN9rocsparseL24bsrsm_lower_large_kernelILj128ELj16ELb0E21rocsparse_complex_numIfEEEviiPKiS4_PKT2_iPS5_iPiS4_S9_21rocsparse_index_base_20rocsparse_diag_type_20rocsparse_direction_ ; -- Begin function _ZN9rocsparseL24bsrsm_lower_large_kernelILj128ELj16ELb0E21rocsparse_complex_numIfEEEviiPKiS4_PKT2_iPS5_iPiS4_S9_21rocsparse_index_base_20rocsparse_diag_type_20rocsparse_direction_
	.p2align	8
	.type	_ZN9rocsparseL24bsrsm_lower_large_kernelILj128ELj16ELb0E21rocsparse_complex_numIfEEEviiPKiS4_PKT2_iPS5_iPiS4_S9_21rocsparse_index_base_20rocsparse_diag_type_20rocsparse_direction_,@function
_ZN9rocsparseL24bsrsm_lower_large_kernelILj128ELj16ELb0E21rocsparse_complex_numIfEEEviiPKiS4_PKT2_iPS5_iPiS4_S9_21rocsparse_index_base_20rocsparse_diag_type_20rocsparse_direction_: ; @_ZN9rocsparseL24bsrsm_lower_large_kernelILj128ELj16ELb0E21rocsparse_complex_numIfEEEviiPKiS4_PKT2_iPS5_iPiS4_S9_21rocsparse_index_base_20rocsparse_diag_type_20rocsparse_direction_
; %bb.0:
	s_clause 0x1
	s_load_b64 s[24:25], s[0:1], 0x0
	s_load_b128 s[8:11], s[0:1], 0x8
	s_bfe_u32 s4, ttmp6, 0x4000c
	s_and_b32 s3, ttmp6, 15
	s_add_co_i32 s4, s4, 1
	s_getreg_b32 s5, hwreg(HW_REG_IB_STS2, 6, 4)
	s_mul_i32 s4, ttmp9, s4
	v_dual_lshrrev_b32 v4, 3, v0 :: v_dual_bitop2_b32 v5, 7, v0 bitop3:0x40
	s_add_co_i32 s3, s3, s4
	s_wait_kmcnt 0x0
	s_cvt_f32_u32 s2, s24
	s_sub_co_i32 s6, 0, s24
	s_delay_alu instid0(SALU_CYCLE_2) | instskip(SKIP_1) | instid1(TRANS32_DEP_1)
	v_rcp_iflag_f32_e32 v1, s2
	v_nop
	v_readfirstlane_b32 s2, v1
	s_mul_f32 s2, s2, 0x4f7ffffe
	s_delay_alu instid0(SALU_CYCLE_3) | instskip(NEXT) | instid1(SALU_CYCLE_3)
	s_cvt_u32_f32 s2, s2
	s_mul_i32 s6, s6, s2
	s_delay_alu instid0(SALU_CYCLE_1) | instskip(NEXT) | instid1(SALU_CYCLE_1)
	s_mul_hi_u32 s6, s2, s6
	s_add_co_i32 s2, s2, s6
	s_cmp_eq_u32 s5, 0
	s_load_b128 s[4:7], s[0:1], 0x38
	s_cselect_b32 s3, ttmp9, s3
	s_delay_alu instid0(SALU_CYCLE_1) | instskip(NEXT) | instid1(SALU_CYCLE_1)
	s_mul_hi_u32 s2, s3, s2
	s_mul_i32 s12, s2, s24
	s_add_co_i32 s13, s2, 1
	s_sub_co_i32 s12, s3, s12
	s_delay_alu instid0(SALU_CYCLE_1)
	s_sub_co_i32 s14, s12, s24
	s_cmp_ge_u32 s12, s24
	s_cselect_b32 s2, s13, s2
	s_cselect_b32 s12, s14, s12
	s_add_co_i32 s13, s2, 1
	s_cmp_ge_u32 s12, s24
	s_cselect_b32 s19, s13, s2
	s_delay_alu instid0(SALU_CYCLE_1) | instskip(SKIP_4) | instid1(SALU_CYCLE_1)
	s_mul_i32 s15, s19, s24
	s_lshl_b32 s19, s19, 4
	s_sub_co_i32 s2, s3, s15
	v_or_b32_e32 v1, s19, v4
	s_ashr_i32 s3, s2, 31
	s_lshl_b64 s[12:13], s[2:3], 2
	s_load_b64 s[2:3], s[0:1], 0x48
	s_wait_kmcnt 0x0
	s_add_nc_u64 s[6:7], s[6:7], s[12:13]
	v_cmp_gt_i32_e32 vcc_lo, s25, v1
	s_load_b32 s6, s[6:7], 0x0
	s_wait_kmcnt 0x0
	s_ashr_i32 s7, s6, 31
	s_delay_alu instid0(SALU_CYCLE_1) | instskip(NEXT) | instid1(SALU_CYCLE_1)
	s_lshl_b64 s[12:13], s[6:7], 2
	s_add_nc_u64 s[26:27], s[8:9], s[12:13]
	s_load_b96 s[12:14], s[0:1], 0x50
	s_load_b64 s[8:9], s[26:27], 0x0
	s_clause 0x1
	s_load_b96 s[16:18], s[0:1], 0x18
	s_load_b96 s[20:22], s[0:1], 0x28
	s_wait_xcnt 0x0
	v_cmp_eq_u32_e64 s0, 0, v0
	s_wait_kmcnt 0x0
	s_sub_co_i32 s23, s8, s12
	s_cmp_ge_i32 s8, s9
	s_mul_i32 s7, s6, s18
	s_mul_i32 s26, s18, s18
	s_cbranch_scc1 .LBB41_18
; %bb.1:
	v_mad_u32 v2, s18, s23, v5
	v_cmp_gt_i32_e64 s1, s18, v5
	s_sub_co_i32 s27, s9, s12
	v_mov_b32_e32 v7, 0
	s_cmp_lg_u32 s14, 0
	s_mul_i32 s30, s22, s18
	s_cselect_b32 s28, -1, 0
	s_and_b32 s1, vcc_lo, s1
	s_lshl_b32 s31, s18, 3
	v_mul_lo_u32 v6, s18, v2
	s_branch .LBB41_3
.LBB41_2:                               ;   in Loop: Header=BB41_3 Depth=1
                                        ; implicit-def: $vgpr6
	s_and_b32 vcc_lo, exec_lo, s8
	s_cbranch_vccnz .LBB41_19
.LBB41_3:                               ; =>This Loop Header: Depth=1
                                        ;     Child Loop BB41_7 Depth 2
                                        ;     Child Loop BB41_11 Depth 2
                                        ;       Child Loop BB41_13 Depth 3
	s_wait_xcnt 0x0
	v_mov_b32_e32 v2, s23
	global_load_b32 v2, v2, s[10:11] scale_offset
	s_wait_loadcnt 0x0
	v_readfirstlane_b32 s8, v2
	s_sub_co_i32 s29, s8, s12
	s_mov_b32 s8, -1
	s_cmp_ge_i32 s29, s6
	s_cbranch_scc1 .LBB41_2
; %bb.4:                                ;   in Loop: Header=BB41_3 Depth=1
	s_wait_xcnt 0x0
	s_and_saveexec_b32 s33, s0
	s_cbranch_execz .LBB41_8
; %bb.5:                                ;   in Loop: Header=BB41_3 Depth=1
	s_add_co_i32 s8, s29, s15
	s_delay_alu instid0(SALU_CYCLE_1)
	v_mov_b32_e32 v2, s8
	global_load_b32 v2, v2, s[4:5] scale_offset scope:SCOPE_DEV
	s_wait_loadcnt 0x0
	v_cmp_ne_u32_e32 vcc_lo, 0, v2
	s_cbranch_vccnz .LBB41_8
; %bb.6:                                ;   in Loop: Header=BB41_3 Depth=1
	s_ashr_i32 s9, s8, 31
	s_delay_alu instid0(SALU_CYCLE_1) | instskip(NEXT) | instid1(SALU_CYCLE_1)
	s_lshl_b64 s[8:9], s[8:9], 2
	s_add_nc_u64 s[8:9], s[4:5], s[8:9]
.LBB41_7:                               ;   Parent Loop BB41_3 Depth=1
                                        ; =>  This Inner Loop Header: Depth=2
	global_load_b32 v2, v7, s[8:9] scope:SCOPE_DEV
	s_wait_loadcnt 0x0
	v_cmp_eq_u32_e32 vcc_lo, 0, v2
	s_cbranch_vccnz .LBB41_7
.LBB41_8:                               ;   in Loop: Header=BB41_3 Depth=1
	s_wait_xcnt 0x0
	s_or_b32 exec_lo, exec_lo, s33
	global_wb scope:SCOPE_DEV
	s_wait_storecnt 0x0
	global_inv scope:SCOPE_DEV
	s_wait_loadcnt 0x0
	s_barrier_signal -1
	s_barrier_wait -1
	s_and_saveexec_b32 s8, s1
	s_cbranch_execz .LBB41_17
; %bb.9:                                ;   in Loop: Header=BB41_3 Depth=1
	v_mad_u32 v8, s30, s29, v1
	v_dual_mov_b32 v9, v6 :: v_dual_mov_b32 v10, v5
	s_mul_i32 s9, s23, s18
	s_mov_b32 s33, 0
	s_branch .LBB41_11
.LBB41_10:                              ;   in Loop: Header=BB41_11 Depth=2
	v_dual_add_nc_u32 v11, s7, v10 :: v_dual_add_nc_u32 v10, 8, v10
	v_add_nc_u32_e32 v9, s31, v9
	s_delay_alu instid0(VALU_DEP_2) | instskip(NEXT) | instid1(VALU_DEP_3)
	v_mad_u32 v11, v11, s22, v1
	v_cmp_le_i32_e32 vcc_lo, s18, v10
	s_or_b32 s33, vcc_lo, s33
	global_load_b64 v[12:13], v11, s[20:21] scale_offset
	s_wait_loadcnt 0x0
	v_pk_add_f32 v[2:3], v[12:13], v[2:3] neg_lo:[0,1] neg_hi:[0,1]
	global_store_b64 v11, v[2:3], s[20:21] scale_offset
	s_wait_xcnt 0x0
	s_and_not1_b32 exec_lo, exec_lo, s33
	s_cbranch_execz .LBB41_17
.LBB41_11:                              ;   Parent Loop BB41_3 Depth=1
                                        ; =>  This Loop Header: Depth=2
                                        ;       Child Loop BB41_13 Depth 3
	s_delay_alu instid0(VALU_DEP_2) | instskip(SKIP_1) | instid1(VALU_DEP_1)
	v_dual_mov_b32 v2, 0 :: v_dual_mov_b32 v11, v8
	s_mov_b32 s34, 0
	v_mov_b32_e32 v3, v2
	s_branch .LBB41_13
.LBB41_12:                              ;   in Loop: Header=BB41_13 Depth=3
	global_load_b64 v[14:15], v11, s[20:21] scale_offset
	global_load_b64 v[16:17], v12, s[16:17] scale_offset
	s_wait_xcnt 0x1
	v_add_nc_u32_e32 v11, s22, v11
	s_add_co_i32 s34, s34, 1
	s_delay_alu instid0(SALU_CYCLE_1) | instskip(SKIP_2) | instid1(VALU_DEP_1)
	s_cmp_eq_u32 s18, s34
	s_wait_loadcnt 0x0
	v_pk_fma_f32 v[2:3], v[16:17], v[14:15], v[2:3] op_sel_hi:[1,0,1]
	v_pk_fma_f32 v[2:3], v[16:17], v[14:15], v[2:3] op_sel:[1,1,0] op_sel_hi:[0,1,1] neg_lo:[1,0,0]
	s_cbranch_scc1 .LBB41_10
.LBB41_13:                              ;   Parent Loop BB41_3 Depth=1
                                        ;     Parent Loop BB41_11 Depth=2
                                        ; =>    This Inner Loop Header: Depth=3
	s_and_b32 vcc_lo, exec_lo, s28
	s_cbranch_vccz .LBB41_15
; %bb.14:                               ;   in Loop: Header=BB41_13 Depth=3
	s_add_co_i32 s35, s34, s9
	s_wait_xcnt 0x0
	v_mad_u32 v12, s35, s18, v10
	s_cbranch_execnz .LBB41_12
	s_branch .LBB41_16
.LBB41_15:                              ;   in Loop: Header=BB41_13 Depth=3
                                        ; implicit-def: $vgpr12
.LBB41_16:                              ;   in Loop: Header=BB41_13 Depth=3
	s_wait_xcnt 0x0
	v_add_nc_u32_e32 v12, s34, v9
	s_branch .LBB41_12
.LBB41_17:                              ;   in Loop: Header=BB41_3 Depth=1
	s_or_b32 exec_lo, exec_lo, s8
	s_add_co_i32 s23, s23, 1
	v_add_nc_u32_e32 v6, s26, v6
	s_cmp_ge_i32 s23, s27
	s_cselect_b32 s8, -1, 0
	s_delay_alu instid0(SALU_CYCLE_1)
	s_and_b32 vcc_lo, exec_lo, s8
	s_cbranch_vccz .LBB41_3
	s_branch .LBB41_19
.LBB41_18:
	s_mov_b32 s29, s24
.LBB41_19:
	s_cmp_lt_i32 s6, s24
	v_cmp_gt_i32_e32 vcc_lo, s25, v1
	s_cselect_b32 s1, -1, 0
	s_cmp_eq_u32 s6, s29
	s_cselect_b32 s0, -1, 0
	s_delay_alu instid0(SALU_CYCLE_1) | instskip(SKIP_2) | instid1(SALU_CYCLE_1)
	s_and_b32 s0, vcc_lo, s0
	s_cmp_gt_i32 s18, 0
	s_cselect_b32 s8, -1, 0
	s_and_b32 s8, s0, s8
	s_mov_b32 s0, 0
	s_and_b32 s9, s8, s1
	s_wait_xcnt 0x0
	s_and_saveexec_b32 s8, s9
	s_cbranch_execz .LBB41_35
; %bb.20:
	v_dual_add_nc_u32 v2, s7, v5 :: v_dual_add_nc_u32 v8, 1, v5
	s_cmp_eq_u32 s13, 0
	s_mov_b32 s9, 0
	s_cselect_b32 s10, -1, 0
	s_delay_alu instid0(VALU_DEP_1)
	v_mad_u32 v2, s22, v2, s22
	s_cmp_lg_u32 s14, 0
	s_mul_i32 s11, s23, s18
	s_cselect_b32 s13, -1, 0
	s_lshl_b32 s14, s22, 3
	s_mov_b32 s24, 0
	s_delay_alu instid0(VALU_DEP_1)
	v_add3_u32 v9, v4, v2, s19
	s_mul_i32 s19, s23, s26
	s_add_co_i32 s23, s18, 1
	s_branch .LBB41_22
.LBB41_21:                              ;   in Loop: Header=BB41_22 Depth=1
	s_or_b32 exec_lo, exec_lo, s0
	v_add_nc_u32_e32 v9, s22, v9
	s_add_co_i32 s9, s9, 1
	s_add_co_i32 s19, s19, s23
	s_cmp_eq_u32 s9, s18
	s_cbranch_scc1 .LBB41_34
.LBB41_22:                              ; =>This Loop Header: Depth=1
                                        ;     Child Loop BB41_30 Depth 2
	s_and_not1_b32 vcc_lo, exec_lo, s10
	s_cbranch_vccz .LBB41_24
; %bb.23:                               ;   in Loop: Header=BB41_22 Depth=1
	v_dual_mov_b32 v4, 1.0 :: v_dual_mov_b32 v5, 0
	s_branch .LBB41_25
.LBB41_24:                              ;   in Loop: Header=BB41_22 Depth=1
	s_add_co_i32 s0, s9, s11
	s_delay_alu instid0(SALU_CYCLE_1) | instskip(NEXT) | instid1(SALU_CYCLE_1)
	s_mul_i32 s0, s0, s18
	s_add_co_i32 s0, s0, s9
	s_wait_loadcnt 0x0
	v_mov_b32_e32 v2, s0
	global_load_b64 v[4:5], v2, s[16:17] scale_offset
.LBB41_25:                              ;   in Loop: Header=BB41_22 Depth=1
	s_add_co_i32 s0, s9, s7
	s_wait_loadcnt 0x0
	s_delay_alu instid0(VALU_DEP_1) | instskip(SKIP_3) | instid1(SALU_CYCLE_1)
	v_cmp_eq_f32_e32 vcc_lo, 0, v4
	v_mad_u32 v6, s0, s22, v1
	v_cmp_eq_f32_e64 s0, 0, v5
	s_and_b32 s0, vcc_lo, s0
	s_and_b32 vcc_lo, exec_lo, s0
	global_load_b64 v[2:3], v6, s[20:21] scale_offset
	s_cbranch_vccnz .LBB41_27
; %bb.26:                               ;   in Loop: Header=BB41_22 Depth=1
	v_mul_f32_e32 v12, v5, v5
	s_delay_alu instid0(VALU_DEP_1) | instskip(NEXT) | instid1(VALU_DEP_1)
	v_fmac_f32_e32 v12, v4, v4
	v_div_scale_f32 v7, null, v12, v12, 1.0
	v_div_scale_f32 v13, vcc_lo, 1.0, v12, 1.0
	s_delay_alu instid0(VALU_DEP_2)
	v_rcp_f32_e32 v11, v7
	v_nop
	v_xor_b32_e32 v7, 0x80000000, v7
	s_delay_alu instid0(TRANS32_DEP_1) | instid1(VALU_DEP_1)
	v_fma_f32 v10, v7, v11, 1.0
	s_delay_alu instid0(VALU_DEP_1) | instskip(NEXT) | instid1(VALU_DEP_1)
	v_fmac_f32_e32 v11, v10, v11
	v_mul_f32_e32 v14, v13, v11
	s_delay_alu instid0(VALU_DEP_1) | instskip(NEXT) | instid1(VALU_DEP_1)
	v_fma_f32 v10, v7, v14, v13
	v_dual_fmac_f32 v14, v10, v11 :: v_dual_mov_b32 v10, v5
	s_delay_alu instid0(VALU_DEP_1) | instskip(SKIP_1) | instid1(VALU_DEP_2)
	v_fmac_f32_e32 v13, v7, v14
	v_ashrrev_i32_e32 v7, 31, v6
	v_div_fmas_f32 v5, v13, v11, v14
	s_wait_loadcnt 0x0
	v_pk_mul_f32 v[10:11], v[10:11], v[2:3] op_sel:[0,1] op_sel_hi:[0,0] neg_hi:[0,1]
	s_delay_alu instid0(VALU_DEP_2) | instskip(NEXT) | instid1(VALU_DEP_2)
	v_div_fixup_f32 v12, v5, v12, 1.0
	v_pk_fma_f32 v[2:3], v[2:3], v[4:5], v[10:11] op_sel_hi:[1,0,1]
	v_lshl_add_u64 v[4:5], v[6:7], 3, s[20:21]
	s_delay_alu instid0(VALU_DEP_2)
	v_pk_mul_f32 v[2:3], v[12:13], v[2:3] op_sel_hi:[0,1]
	global_store_b64 v[4:5], v[2:3], off
	s_wait_xcnt 0x1
	v_add_nc_u32_e32 v6, s9, v8
	s_mov_b32 s0, exec_lo
	s_wait_xcnt 0x0
	s_delay_alu instid0(VALU_DEP_1)
	v_cmpx_gt_i32_e64 s18, v6
	s_cbranch_execz .LBB41_21
	s_branch .LBB41_28
.LBB41_27:                              ;   in Loop: Header=BB41_22 Depth=1
	s_mov_b32 s24, -1
	s_wait_xcnt 0x0
	v_add_nc_u32_e32 v6, s9, v8
	s_mov_b32 s0, exec_lo
	s_delay_alu instid0(VALU_DEP_1)
	v_cmpx_gt_i32_e64 s18, v6
	s_cbranch_execz .LBB41_21
.LBB41_28:                              ;   in Loop: Header=BB41_22 Depth=1
	s_wait_loadcnt 0x0
	v_xor_b32_e32 v4, 0x80000000, v3
	v_dual_mov_b32 v5, v2 :: v_dual_mov_b32 v7, v9
	v_mov_b32_e32 v10, v8
	s_mov_b32 s25, 0
	s_branch .LBB41_30
.LBB41_29:                              ;   in Loop: Header=BB41_30 Depth=2
	global_load_b64 v[12:13], v11, s[16:17] scale_offset
	global_load_b64 v[14:15], v7, s[20:21] scale_offset
	v_add_nc_u32_e32 v10, 8, v10
	v_add_nc_u32_e32 v6, 8, v6
	s_wait_loadcnt 0x1
	v_pk_mul_f32 v[16:17], v[12:13], v[4:5] op_sel:[1,0]
	s_delay_alu instid0(VALU_DEP_1) | instskip(SKIP_1) | instid1(VALU_DEP_1)
	v_pk_fma_f32 v[12:13], v[2:3], v[12:13], v[16:17] op_sel_hi:[1,0,1]
	s_wait_loadcnt 0x0
	v_pk_add_f32 v[12:13], v[14:15], v[12:13] neg_lo:[0,1] neg_hi:[0,1]
	global_store_b64 v7, v[12:13], s[20:21] scale_offset
	s_wait_xcnt 0x0
	v_dual_add_nc_u32 v7, s14, v7 :: v_dual_add_nc_u32 v11, s9, v10
	s_delay_alu instid0(VALU_DEP_1) | instskip(SKIP_1) | instid1(SALU_CYCLE_1)
	v_cmp_le_i32_e32 vcc_lo, s18, v11
	s_or_b32 s25, vcc_lo, s25
	s_and_not1_b32 exec_lo, exec_lo, s25
	s_cbranch_execz .LBB41_21
.LBB41_30:                              ;   Parent Loop BB41_22 Depth=1
                                        ; =>  This Inner Loop Header: Depth=2
	s_and_b32 vcc_lo, exec_lo, s13
	s_cbranch_vccz .LBB41_32
; %bb.31:                               ;   in Loop: Header=BB41_30 Depth=2
	v_add_nc_u32_e32 v11, s19, v10
	s_cbranch_execnz .LBB41_29
	s_branch .LBB41_33
.LBB41_32:                              ;   in Loop: Header=BB41_30 Depth=2
                                        ; implicit-def: $vgpr11
.LBB41_33:                              ;   in Loop: Header=BB41_30 Depth=2
	v_add_nc_u32_e32 v11, s11, v6
	s_delay_alu instid0(VALU_DEP_1)
	v_mad_u32 v11, v11, s18, s9
	s_branch .LBB41_29
.LBB41_34:
	s_and_b32 s0, s24, exec_lo
.LBB41_35:
	s_or_b32 exec_lo, exec_lo, s8
	v_cmp_eq_u32_e32 vcc_lo, 0, v0
	global_wb scope:SCOPE_DEV
	s_wait_loadcnt 0x0
	s_wait_storecnt 0x0
	global_inv scope:SCOPE_DEV
	s_wait_loadcnt 0x0
	s_barrier_signal -1
	s_barrier_wait -1
	s_and_b32 s1, vcc_lo, s1
	s_delay_alu instid0(SALU_CYCLE_1)
	s_and_saveexec_b32 s7, s1
	s_cbranch_execz .LBB41_39
; %bb.36:
	s_add_co_i32 s1, s6, s15
	s_delay_alu instid0(SALU_CYCLE_1)
	v_dual_mov_b32 v0, 1 :: v_dual_mov_b32 v1, s1
	global_store_b32 v1, v0, s[4:5] scale_offset scope:SCOPE_DEV
	s_wait_xcnt 0x0
	s_and_b32 exec_lo, exec_lo, s0
	s_cbranch_execz .LBB41_39
; %bb.37:
	v_mbcnt_lo_u32_b32 v0, exec_lo, 0
	s_delay_alu instid0(VALU_DEP_1)
	v_cmp_eq_u32_e32 vcc_lo, 0, v0
	s_and_b32 exec_lo, exec_lo, vcc_lo
	s_cbranch_execz .LBB41_39
; %bb.38:
	s_add_co_i32 s0, s6, s12
	s_delay_alu instid0(SALU_CYCLE_1)
	v_dual_mov_b32 v0, 0 :: v_dual_mov_b32 v1, s0
	global_atomic_min_i32 v0, v1, s[2:3] scope:SCOPE_DEV
.LBB41_39:
	s_endpgm
	.section	.rodata,"a",@progbits
	.p2align	6, 0x0
	.amdhsa_kernel _ZN9rocsparseL24bsrsm_lower_large_kernelILj128ELj16ELb0E21rocsparse_complex_numIfEEEviiPKiS4_PKT2_iPS5_iPiS4_S9_21rocsparse_index_base_20rocsparse_diag_type_20rocsparse_direction_
		.amdhsa_group_segment_fixed_size 0
		.amdhsa_private_segment_fixed_size 0
		.amdhsa_kernarg_size 92
		.amdhsa_user_sgpr_count 2
		.amdhsa_user_sgpr_dispatch_ptr 0
		.amdhsa_user_sgpr_queue_ptr 0
		.amdhsa_user_sgpr_kernarg_segment_ptr 1
		.amdhsa_user_sgpr_dispatch_id 0
		.amdhsa_user_sgpr_kernarg_preload_length 0
		.amdhsa_user_sgpr_kernarg_preload_offset 0
		.amdhsa_user_sgpr_private_segment_size 0
		.amdhsa_wavefront_size32 1
		.amdhsa_uses_dynamic_stack 0
		.amdhsa_enable_private_segment 0
		.amdhsa_system_sgpr_workgroup_id_x 1
		.amdhsa_system_sgpr_workgroup_id_y 0
		.amdhsa_system_sgpr_workgroup_id_z 0
		.amdhsa_system_sgpr_workgroup_info 0
		.amdhsa_system_vgpr_workitem_id 0
		.amdhsa_next_free_vgpr 18
		.amdhsa_next_free_sgpr 36
		.amdhsa_named_barrier_count 0
		.amdhsa_reserve_vcc 1
		.amdhsa_float_round_mode_32 0
		.amdhsa_float_round_mode_16_64 0
		.amdhsa_float_denorm_mode_32 3
		.amdhsa_float_denorm_mode_16_64 3
		.amdhsa_fp16_overflow 0
		.amdhsa_memory_ordered 1
		.amdhsa_forward_progress 1
		.amdhsa_inst_pref_size 14
		.amdhsa_round_robin_scheduling 0
		.amdhsa_exception_fp_ieee_invalid_op 0
		.amdhsa_exception_fp_denorm_src 0
		.amdhsa_exception_fp_ieee_div_zero 0
		.amdhsa_exception_fp_ieee_overflow 0
		.amdhsa_exception_fp_ieee_underflow 0
		.amdhsa_exception_fp_ieee_inexact 0
		.amdhsa_exception_int_div_zero 0
	.end_amdhsa_kernel
	.section	.text._ZN9rocsparseL24bsrsm_lower_large_kernelILj128ELj16ELb0E21rocsparse_complex_numIfEEEviiPKiS4_PKT2_iPS5_iPiS4_S9_21rocsparse_index_base_20rocsparse_diag_type_20rocsparse_direction_,"axG",@progbits,_ZN9rocsparseL24bsrsm_lower_large_kernelILj128ELj16ELb0E21rocsparse_complex_numIfEEEviiPKiS4_PKT2_iPS5_iPiS4_S9_21rocsparse_index_base_20rocsparse_diag_type_20rocsparse_direction_,comdat
.Lfunc_end41:
	.size	_ZN9rocsparseL24bsrsm_lower_large_kernelILj128ELj16ELb0E21rocsparse_complex_numIfEEEviiPKiS4_PKT2_iPS5_iPiS4_S9_21rocsparse_index_base_20rocsparse_diag_type_20rocsparse_direction_, .Lfunc_end41-_ZN9rocsparseL24bsrsm_lower_large_kernelILj128ELj16ELb0E21rocsparse_complex_numIfEEEviiPKiS4_PKT2_iPS5_iPiS4_S9_21rocsparse_index_base_20rocsparse_diag_type_20rocsparse_direction_
                                        ; -- End function
	.set _ZN9rocsparseL24bsrsm_lower_large_kernelILj128ELj16ELb0E21rocsparse_complex_numIfEEEviiPKiS4_PKT2_iPS5_iPiS4_S9_21rocsparse_index_base_20rocsparse_diag_type_20rocsparse_direction_.num_vgpr, 18
	.set _ZN9rocsparseL24bsrsm_lower_large_kernelILj128ELj16ELb0E21rocsparse_complex_numIfEEEviiPKiS4_PKT2_iPS5_iPiS4_S9_21rocsparse_index_base_20rocsparse_diag_type_20rocsparse_direction_.num_agpr, 0
	.set _ZN9rocsparseL24bsrsm_lower_large_kernelILj128ELj16ELb0E21rocsparse_complex_numIfEEEviiPKiS4_PKT2_iPS5_iPiS4_S9_21rocsparse_index_base_20rocsparse_diag_type_20rocsparse_direction_.numbered_sgpr, 36
	.set _ZN9rocsparseL24bsrsm_lower_large_kernelILj128ELj16ELb0E21rocsparse_complex_numIfEEEviiPKiS4_PKT2_iPS5_iPiS4_S9_21rocsparse_index_base_20rocsparse_diag_type_20rocsparse_direction_.num_named_barrier, 0
	.set _ZN9rocsparseL24bsrsm_lower_large_kernelILj128ELj16ELb0E21rocsparse_complex_numIfEEEviiPKiS4_PKT2_iPS5_iPiS4_S9_21rocsparse_index_base_20rocsparse_diag_type_20rocsparse_direction_.private_seg_size, 0
	.set _ZN9rocsparseL24bsrsm_lower_large_kernelILj128ELj16ELb0E21rocsparse_complex_numIfEEEviiPKiS4_PKT2_iPS5_iPiS4_S9_21rocsparse_index_base_20rocsparse_diag_type_20rocsparse_direction_.uses_vcc, 1
	.set _ZN9rocsparseL24bsrsm_lower_large_kernelILj128ELj16ELb0E21rocsparse_complex_numIfEEEviiPKiS4_PKT2_iPS5_iPiS4_S9_21rocsparse_index_base_20rocsparse_diag_type_20rocsparse_direction_.uses_flat_scratch, 0
	.set _ZN9rocsparseL24bsrsm_lower_large_kernelILj128ELj16ELb0E21rocsparse_complex_numIfEEEviiPKiS4_PKT2_iPS5_iPiS4_S9_21rocsparse_index_base_20rocsparse_diag_type_20rocsparse_direction_.has_dyn_sized_stack, 0
	.set _ZN9rocsparseL24bsrsm_lower_large_kernelILj128ELj16ELb0E21rocsparse_complex_numIfEEEviiPKiS4_PKT2_iPS5_iPiS4_S9_21rocsparse_index_base_20rocsparse_diag_type_20rocsparse_direction_.has_recursion, 0
	.set _ZN9rocsparseL24bsrsm_lower_large_kernelILj128ELj16ELb0E21rocsparse_complex_numIfEEEviiPKiS4_PKT2_iPS5_iPiS4_S9_21rocsparse_index_base_20rocsparse_diag_type_20rocsparse_direction_.has_indirect_call, 0
	.section	.AMDGPU.csdata,"",@progbits
; Kernel info:
; codeLenInByte = 1760
; TotalNumSgprs: 38
; NumVgprs: 18
; ScratchSize: 0
; MemoryBound: 0
; FloatMode: 240
; IeeeMode: 1
; LDSByteSize: 0 bytes/workgroup (compile time only)
; SGPRBlocks: 0
; VGPRBlocks: 1
; NumSGPRsForWavesPerEU: 38
; NumVGPRsForWavesPerEU: 18
; NamedBarCnt: 0
; Occupancy: 16
; WaveLimiterHint : 1
; COMPUTE_PGM_RSRC2:SCRATCH_EN: 0
; COMPUTE_PGM_RSRC2:USER_SGPR: 2
; COMPUTE_PGM_RSRC2:TRAP_HANDLER: 0
; COMPUTE_PGM_RSRC2:TGID_X_EN: 1
; COMPUTE_PGM_RSRC2:TGID_Y_EN: 0
; COMPUTE_PGM_RSRC2:TGID_Z_EN: 0
; COMPUTE_PGM_RSRC2:TIDIG_COMP_CNT: 0
	.section	.text._ZN9rocsparseL24bsrsm_upper_large_kernelILj256ELj16ELb0E21rocsparse_complex_numIfEEEviiPKiS4_PKT2_iPS5_iPiS4_S9_21rocsparse_index_base_20rocsparse_diag_type_20rocsparse_direction_,"axG",@progbits,_ZN9rocsparseL24bsrsm_upper_large_kernelILj256ELj16ELb0E21rocsparse_complex_numIfEEEviiPKiS4_PKT2_iPS5_iPiS4_S9_21rocsparse_index_base_20rocsparse_diag_type_20rocsparse_direction_,comdat
	.globl	_ZN9rocsparseL24bsrsm_upper_large_kernelILj256ELj16ELb0E21rocsparse_complex_numIfEEEviiPKiS4_PKT2_iPS5_iPiS4_S9_21rocsparse_index_base_20rocsparse_diag_type_20rocsparse_direction_ ; -- Begin function _ZN9rocsparseL24bsrsm_upper_large_kernelILj256ELj16ELb0E21rocsparse_complex_numIfEEEviiPKiS4_PKT2_iPS5_iPiS4_S9_21rocsparse_index_base_20rocsparse_diag_type_20rocsparse_direction_
	.p2align	8
	.type	_ZN9rocsparseL24bsrsm_upper_large_kernelILj256ELj16ELb0E21rocsparse_complex_numIfEEEviiPKiS4_PKT2_iPS5_iPiS4_S9_21rocsparse_index_base_20rocsparse_diag_type_20rocsparse_direction_,@function
_ZN9rocsparseL24bsrsm_upper_large_kernelILj256ELj16ELb0E21rocsparse_complex_numIfEEEviiPKiS4_PKT2_iPS5_iPiS4_S9_21rocsparse_index_base_20rocsparse_diag_type_20rocsparse_direction_: ; @_ZN9rocsparseL24bsrsm_upper_large_kernelILj256ELj16ELb0E21rocsparse_complex_numIfEEEviiPKiS4_PKT2_iPS5_iPiS4_S9_21rocsparse_index_base_20rocsparse_diag_type_20rocsparse_direction_
; %bb.0:
	s_clause 0x1
	s_load_b64 s[24:25], s[0:1], 0x0
	s_load_b128 s[8:11], s[0:1], 0x8
	s_bfe_u32 s4, ttmp6, 0x4000c
	s_and_b32 s3, ttmp6, 15
	s_add_co_i32 s4, s4, 1
	s_getreg_b32 s5, hwreg(HW_REG_IB_STS2, 6, 4)
	s_mul_i32 s4, ttmp9, s4
	v_dual_lshrrev_b32 v4, 4, v0 :: v_dual_bitop2_b32 v8, 15, v0 bitop3:0x40
	s_add_co_i32 s3, s3, s4
	s_wait_kmcnt 0x0
	s_cvt_f32_u32 s2, s24
	s_sub_co_i32 s6, 0, s24
	s_delay_alu instid0(SALU_CYCLE_2) | instskip(SKIP_1) | instid1(TRANS32_DEP_1)
	v_rcp_iflag_f32_e32 v1, s2
	v_nop
	v_readfirstlane_b32 s2, v1
	s_mul_f32 s2, s2, 0x4f7ffffe
	s_delay_alu instid0(SALU_CYCLE_3) | instskip(NEXT) | instid1(SALU_CYCLE_3)
	s_cvt_u32_f32 s2, s2
	s_mul_i32 s6, s6, s2
	s_delay_alu instid0(SALU_CYCLE_1) | instskip(NEXT) | instid1(SALU_CYCLE_1)
	s_mul_hi_u32 s6, s2, s6
	s_add_co_i32 s2, s2, s6
	s_cmp_eq_u32 s5, 0
	s_load_b128 s[4:7], s[0:1], 0x38
	s_cselect_b32 s3, ttmp9, s3
	s_delay_alu instid0(SALU_CYCLE_1) | instskip(NEXT) | instid1(SALU_CYCLE_1)
	s_mul_hi_u32 s2, s3, s2
	s_mul_i32 s12, s2, s24
	s_add_co_i32 s13, s2, 1
	s_sub_co_i32 s12, s3, s12
	s_delay_alu instid0(SALU_CYCLE_1)
	s_sub_co_i32 s14, s12, s24
	s_cmp_ge_u32 s12, s24
	s_cselect_b32 s2, s13, s2
	s_cselect_b32 s12, s14, s12
	s_add_co_i32 s13, s2, 1
	s_cmp_ge_u32 s12, s24
	s_cselect_b32 s19, s13, s2
	s_delay_alu instid0(SALU_CYCLE_1) | instskip(SKIP_4) | instid1(SALU_CYCLE_1)
	s_mul_i32 s15, s19, s24
	s_lshl_b32 s19, s19, 4
	s_sub_co_i32 s2, s3, s15
	v_or_b32_e32 v1, s19, v4
	s_ashr_i32 s3, s2, 31
	s_lshl_b64 s[12:13], s[2:3], 2
	s_load_b64 s[2:3], s[0:1], 0x48
	s_wait_kmcnt 0x0
	s_add_nc_u64 s[6:7], s[6:7], s[12:13]
	s_load_b96 s[12:14], s[0:1], 0x50
	v_cmp_gt_i32_e32 vcc_lo, s25, v1
	s_load_b32 s6, s[6:7], 0x0
	s_wait_kmcnt 0x0
	s_ashr_i32 s7, s6, 31
	s_delay_alu instid0(SALU_CYCLE_1) | instskip(NEXT) | instid1(SALU_CYCLE_1)
	s_lshl_b64 s[16:17], s[6:7], 2
	s_add_nc_u64 s[8:9], s[8:9], s[16:17]
	s_load_b64 s[26:27], s[8:9], 0x0
	s_clause 0x1
	s_load_b96 s[16:18], s[0:1], 0x18
	s_load_b96 s[20:22], s[0:1], 0x28
	s_wait_xcnt 0x0
	s_not_b32 s0, s12
	s_wait_kmcnt 0x0
	s_add_co_i32 s23, s27, s0
	v_cmp_eq_u32_e64 s0, 0, v0
	s_sub_co_i32 s26, s26, s12
	s_mul_i32 s7, s6, s18
	s_cmp_lt_i32 s23, s26
	s_cbranch_scc1 .LBB42_18
; %bb.1:
	v_mad_u32 v2, s18, s23, v8
	v_cmp_gt_i32_e64 s1, s18, v8
	v_mov_b32_e32 v6, 0
	s_cmp_lg_u32 s14, 0
	s_mul_i32 s29, s22, s18
	s_cselect_b32 s27, -1, 0
	s_and_b32 s1, vcc_lo, s1
	s_mul_i32 s30, s18, s18
	s_lshl_b32 s31, s18, 4
	v_mul_lo_u32 v5, s18, v2
	s_branch .LBB42_3
.LBB42_2:                               ;   in Loop: Header=BB42_3 Depth=1
                                        ; implicit-def: $vgpr5
	s_cbranch_execnz .LBB42_19
.LBB42_3:                               ; =>This Loop Header: Depth=1
                                        ;     Child Loop BB42_7 Depth 2
                                        ;     Child Loop BB42_11 Depth 2
                                        ;       Child Loop BB42_13 Depth 3
	s_wait_xcnt 0x0
	v_mov_b32_e32 v2, s23
	global_load_b32 v2, v2, s[10:11] scale_offset
	s_wait_loadcnt 0x0
	v_readfirstlane_b32 s8, v2
	s_sub_co_i32 s28, s8, s12
	s_delay_alu instid0(SALU_CYCLE_1)
	s_cmp_le_i32 s28, s6
	s_cbranch_scc1 .LBB42_2
; %bb.4:                                ;   in Loop: Header=BB42_3 Depth=1
	s_wait_xcnt 0x0
	s_and_saveexec_b32 s33, s0
	s_cbranch_execz .LBB42_8
; %bb.5:                                ;   in Loop: Header=BB42_3 Depth=1
	s_add_co_i32 s8, s28, s15
	s_delay_alu instid0(SALU_CYCLE_1)
	v_mov_b32_e32 v2, s8
	global_load_b32 v2, v2, s[4:5] scale_offset scope:SCOPE_DEV
	s_wait_loadcnt 0x0
	v_cmp_ne_u32_e32 vcc_lo, 0, v2
	s_cbranch_vccnz .LBB42_8
; %bb.6:                                ;   in Loop: Header=BB42_3 Depth=1
	s_ashr_i32 s9, s8, 31
	s_delay_alu instid0(SALU_CYCLE_1) | instskip(NEXT) | instid1(SALU_CYCLE_1)
	s_lshl_b64 s[8:9], s[8:9], 2
	s_add_nc_u64 s[8:9], s[4:5], s[8:9]
.LBB42_7:                               ;   Parent Loop BB42_3 Depth=1
                                        ; =>  This Inner Loop Header: Depth=2
	global_load_b32 v2, v6, s[8:9] scope:SCOPE_DEV
	s_wait_loadcnt 0x0
	v_cmp_eq_u32_e32 vcc_lo, 0, v2
	s_cbranch_vccnz .LBB42_7
.LBB42_8:                               ;   in Loop: Header=BB42_3 Depth=1
	s_wait_xcnt 0x0
	s_or_b32 exec_lo, exec_lo, s33
	global_wb scope:SCOPE_DEV
	s_wait_storecnt 0x0
	global_inv scope:SCOPE_DEV
	s_wait_loadcnt 0x0
	s_barrier_signal -1
	s_barrier_wait -1
	s_and_saveexec_b32 s8, s1
	s_cbranch_execz .LBB42_17
; %bb.9:                                ;   in Loop: Header=BB42_3 Depth=1
	v_mad_u32 v7, s29, s28, v1
	v_dual_mov_b32 v9, v5 :: v_dual_mov_b32 v10, v8
	s_mul_i32 s9, s23, s18
	s_mov_b32 s33, 0
	s_branch .LBB42_11
.LBB42_10:                              ;   in Loop: Header=BB42_11 Depth=2
	v_dual_add_nc_u32 v11, s7, v10 :: v_dual_add_nc_u32 v10, 16, v10
	v_add_nc_u32_e32 v9, s31, v9
	s_delay_alu instid0(VALU_DEP_2) | instskip(NEXT) | instid1(VALU_DEP_3)
	v_mad_u32 v11, v11, s22, v1
	v_cmp_le_i32_e32 vcc_lo, s18, v10
	s_or_b32 s33, vcc_lo, s33
	global_load_b64 v[12:13], v11, s[20:21] scale_offset
	s_wait_loadcnt 0x0
	v_pk_add_f32 v[2:3], v[12:13], v[2:3] neg_lo:[0,1] neg_hi:[0,1]
	global_store_b64 v11, v[2:3], s[20:21] scale_offset
	s_wait_xcnt 0x0
	s_and_not1_b32 exec_lo, exec_lo, s33
	s_cbranch_execz .LBB42_17
.LBB42_11:                              ;   Parent Loop BB42_3 Depth=1
                                        ; =>  This Loop Header: Depth=2
                                        ;       Child Loop BB42_13 Depth 3
	s_delay_alu instid0(VALU_DEP_2) | instskip(SKIP_1) | instid1(VALU_DEP_1)
	v_dual_mov_b32 v2, 0 :: v_dual_mov_b32 v11, v7
	s_mov_b32 s34, 0
	v_mov_b32_e32 v3, v2
	s_branch .LBB42_13
.LBB42_12:                              ;   in Loop: Header=BB42_13 Depth=3
	global_load_b64 v[14:15], v11, s[20:21] scale_offset
	global_load_b64 v[16:17], v12, s[16:17] scale_offset
	s_wait_xcnt 0x1
	v_add_nc_u32_e32 v11, s22, v11
	s_add_co_i32 s34, s34, 1
	s_delay_alu instid0(SALU_CYCLE_1) | instskip(SKIP_2) | instid1(VALU_DEP_1)
	s_cmp_eq_u32 s18, s34
	s_wait_loadcnt 0x0
	v_pk_fma_f32 v[2:3], v[16:17], v[14:15], v[2:3] op_sel_hi:[1,0,1]
	v_pk_fma_f32 v[2:3], v[16:17], v[14:15], v[2:3] op_sel:[1,1,0] op_sel_hi:[0,1,1] neg_lo:[1,0,0]
	s_cbranch_scc1 .LBB42_10
.LBB42_13:                              ;   Parent Loop BB42_3 Depth=1
                                        ;     Parent Loop BB42_11 Depth=2
                                        ; =>    This Inner Loop Header: Depth=3
	s_and_b32 vcc_lo, exec_lo, s27
	s_cbranch_vccz .LBB42_15
; %bb.14:                               ;   in Loop: Header=BB42_13 Depth=3
	s_add_co_i32 s35, s34, s9
	s_wait_xcnt 0x0
	v_mad_u32 v12, s35, s18, v10
	s_cbranch_execnz .LBB42_12
	s_branch .LBB42_16
.LBB42_15:                              ;   in Loop: Header=BB42_13 Depth=3
                                        ; implicit-def: $vgpr12
.LBB42_16:                              ;   in Loop: Header=BB42_13 Depth=3
	s_wait_xcnt 0x0
	v_add_nc_u32_e32 v12, s34, v9
	s_branch .LBB42_12
.LBB42_17:                              ;   in Loop: Header=BB42_3 Depth=1
	s_or_b32 exec_lo, exec_lo, s8
	s_add_co_i32 s9, s23, -1
	s_cmp_le_i32 s23, s26
	v_subrev_nc_u32_e32 v5, s30, v5
	s_cselect_b32 s8, -1, 0
	s_mov_b32 s23, s9
	s_and_b32 vcc_lo, exec_lo, s8
	s_cbranch_vccz .LBB42_3
	s_branch .LBB42_19
.LBB42_18:
	s_mov_b32 s28, s24
.LBB42_19:
	s_cmp_lt_i32 s6, s24
	v_cmp_gt_i32_e32 vcc_lo, s25, v1
	s_cselect_b32 s1, -1, 0
	s_cmp_eq_u32 s6, s28
	s_cselect_b32 s0, -1, 0
	s_delay_alu instid0(SALU_CYCLE_1) | instskip(SKIP_2) | instid1(SALU_CYCLE_1)
	s_and_b32 s0, vcc_lo, s0
	s_cmp_gt_i32 s18, 0
	s_cselect_b32 s8, -1, 0
	s_and_b32 s8, s0, s8
	s_mov_b32 s0, 0
	s_and_b32 s9, s8, s1
	s_wait_xcnt 0x0
	s_and_saveexec_b32 s8, s9
	s_cbranch_execz .LBB42_36
; %bb.20:
	v_add_nc_u32_e32 v2, s7, v8
	s_cmp_eq_u32 s13, 0
	s_mov_b32 s11, 0
	s_cselect_b32 s9, -1, 0
	s_cmp_lg_u32 s14, 0
	v_mul_lo_u32 v2, s22, v2
	s_cselect_b32 s10, -1, 0
	s_add_co_i32 s0, s23, 1
	s_mul_i32 s13, s23, s18
	s_mul_i32 s0, s18, s0
	s_lshl_b32 s14, s22, 4
	s_add_co_i32 s0, s0, -1
	s_mov_b32 s23, s18
	s_delay_alu instid0(VALU_DEP_1)
	v_add3_u32 v9, v4, v2, s19
	s_mul_i32 s19, s18, s0
	s_and_not1_b32 vcc_lo, exec_lo, s9
	s_add_co_i32 s24, s23, -1
	s_cbranch_vccz .LBB42_22
.LBB42_21:
	v_dual_mov_b32 v4, 1.0 :: v_dual_mov_b32 v5, 0
	s_branch .LBB42_23
.LBB42_22:
	s_add_co_i32 s0, s24, s13
	s_delay_alu instid0(SALU_CYCLE_1) | instskip(NEXT) | instid1(SALU_CYCLE_1)
	s_mul_i32 s0, s0, s18
	s_add_co_i32 s0, s0, s24
	s_wait_loadcnt 0x0
	v_mov_b32_e32 v2, s0
	global_load_b64 v[4:5], v2, s[16:17] scale_offset
.LBB42_23:
	s_add_co_i32 s0, s24, s7
	s_wait_loadcnt 0x0
	s_delay_alu instid0(VALU_DEP_1) | instskip(SKIP_3) | instid1(SALU_CYCLE_1)
	v_cmp_eq_f32_e32 vcc_lo, 0, v4
	v_mad_u32 v6, s0, s22, v1
	v_cmp_eq_f32_e64 s0, 0, v5
	s_and_b32 s0, vcc_lo, s0
	s_and_b32 vcc_lo, exec_lo, s0
	global_load_b64 v[2:3], v6, s[20:21] scale_offset
	s_cbranch_vccnz .LBB42_25
; %bb.24:
	v_mul_f32_e32 v12, v5, v5
	s_delay_alu instid0(VALU_DEP_1) | instskip(NEXT) | instid1(VALU_DEP_1)
	v_fmac_f32_e32 v12, v4, v4
	v_div_scale_f32 v7, null, v12, v12, 1.0
	v_div_scale_f32 v13, vcc_lo, 1.0, v12, 1.0
	s_delay_alu instid0(VALU_DEP_2)
	v_rcp_f32_e32 v11, v7
	v_nop
	v_xor_b32_e32 v7, 0x80000000, v7
	s_delay_alu instid0(TRANS32_DEP_1) | instid1(VALU_DEP_1)
	v_fma_f32 v10, v7, v11, 1.0
	s_delay_alu instid0(VALU_DEP_1) | instskip(NEXT) | instid1(VALU_DEP_1)
	v_fmac_f32_e32 v11, v10, v11
	v_mul_f32_e32 v14, v13, v11
	s_delay_alu instid0(VALU_DEP_1) | instskip(NEXT) | instid1(VALU_DEP_1)
	v_fma_f32 v10, v7, v14, v13
	v_dual_fmac_f32 v14, v10, v11 :: v_dual_mov_b32 v10, v5
	s_delay_alu instid0(VALU_DEP_1) | instskip(SKIP_1) | instid1(VALU_DEP_2)
	v_fmac_f32_e32 v13, v7, v14
	v_ashrrev_i32_e32 v7, 31, v6
	v_div_fmas_f32 v5, v13, v11, v14
	s_wait_loadcnt 0x0
	v_pk_mul_f32 v[10:11], v[10:11], v[2:3] op_sel:[0,1] op_sel_hi:[0,0] neg_hi:[0,1]
	s_delay_alu instid0(VALU_DEP_2) | instskip(NEXT) | instid1(VALU_DEP_2)
	v_div_fixup_f32 v12, v5, v12, 1.0
	v_pk_fma_f32 v[2:3], v[2:3], v[4:5], v[10:11] op_sel_hi:[1,0,1]
	v_lshl_add_u64 v[4:5], v[6:7], 3, s[20:21]
	s_delay_alu instid0(VALU_DEP_2)
	v_pk_mul_f32 v[2:3], v[12:13], v[2:3] op_sel_hi:[0,1]
	global_store_b64 v[4:5], v[2:3], off
	s_mov_b32 s0, exec_lo
	s_wait_xcnt 0x0
	v_cmpx_gt_i32_e64 s24, v8
	s_cbranch_execnz .LBB42_26
	s_branch .LBB42_32
.LBB42_25:
	s_mov_b32 s11, -1
	s_mov_b32 s0, exec_lo
	s_wait_xcnt 0x0
	v_cmpx_gt_i32_e64 s24, v8
	s_cbranch_execz .LBB42_32
.LBB42_26:
	s_wait_loadcnt 0x0
	v_xor_b32_e32 v4, 0x80000000, v3
	v_dual_mov_b32 v5, v2 :: v_dual_mov_b32 v6, v9
	v_mov_b32_e32 v7, v8
	s_mov_b32 s25, 0
	s_branch .LBB42_28
.LBB42_27:                              ;   in Loop: Header=BB42_28 Depth=1
	global_load_b64 v[12:13], v10, s[16:17] scale_offset
	global_load_b64 v[14:15], v6, s[20:21] scale_offset
	v_add_nc_u32_e32 v7, 16, v7
	s_wait_loadcnt 0x1
	s_wait_xcnt 0x1
	v_pk_mul_f32 v[10:11], v[12:13], v[4:5] op_sel:[1,0]
	s_delay_alu instid0(VALU_DEP_1) | instskip(SKIP_1) | instid1(VALU_DEP_1)
	v_pk_fma_f32 v[10:11], v[2:3], v[12:13], v[10:11] op_sel_hi:[1,0,1]
	s_wait_loadcnt 0x0
	v_pk_add_f32 v[10:11], v[14:15], v[10:11] neg_lo:[0,1] neg_hi:[0,1]
	global_store_b64 v6, v[10:11], s[20:21] scale_offset
	s_wait_xcnt 0x0
	v_add_nc_u32_e32 v6, s14, v6
	v_cmp_le_i32_e32 vcc_lo, s24, v7
	s_or_b32 s25, vcc_lo, s25
	s_delay_alu instid0(SALU_CYCLE_1)
	s_and_not1_b32 exec_lo, exec_lo, s25
	s_cbranch_execz .LBB42_32
.LBB42_28:                              ; =>This Inner Loop Header: Depth=1
	s_and_b32 vcc_lo, exec_lo, s10
	s_cbranch_vccz .LBB42_30
; %bb.29:                               ;   in Loop: Header=BB42_28 Depth=1
	v_add_nc_u32_e32 v10, s19, v7
	s_cbranch_execnz .LBB42_27
	s_branch .LBB42_31
.LBB42_30:                              ;   in Loop: Header=BB42_28 Depth=1
                                        ; implicit-def: $vgpr10
.LBB42_31:                              ;   in Loop: Header=BB42_28 Depth=1
	v_add_nc_u32_e32 v10, s13, v7
	s_delay_alu instid0(VALU_DEP_1)
	v_mad_u32 v10, v10, s18, s24
	s_branch .LBB42_27
.LBB42_32:
	s_or_b32 exec_lo, exec_lo, s0
; %bb.33:
	s_sub_co_i32 s19, s19, s18
	s_cmp_lt_i32 s23, 2
	s_cbranch_scc1 .LBB42_35
; %bb.34:
	s_mov_b32 s23, s24
	s_and_not1_b32 vcc_lo, exec_lo, s9
	s_add_co_i32 s24, s23, -1
	s_cbranch_vccnz .LBB42_21
	s_branch .LBB42_22
.LBB42_35:
	s_and_b32 s0, s11, exec_lo
.LBB42_36:
	s_or_b32 exec_lo, exec_lo, s8
	v_cmp_eq_u32_e32 vcc_lo, 0, v0
	global_wb scope:SCOPE_DEV
	s_wait_loadcnt 0x0
	s_wait_storecnt 0x0
	global_inv scope:SCOPE_DEV
	s_wait_loadcnt 0x0
	s_barrier_signal -1
	s_barrier_wait -1
	s_and_b32 s1, vcc_lo, s1
	s_delay_alu instid0(SALU_CYCLE_1)
	s_and_saveexec_b32 s7, s1
	s_cbranch_execz .LBB42_40
; %bb.37:
	s_add_co_i32 s1, s6, s15
	s_delay_alu instid0(SALU_CYCLE_1)
	v_dual_mov_b32 v0, 1 :: v_dual_mov_b32 v1, s1
	global_store_b32 v1, v0, s[4:5] scale_offset scope:SCOPE_DEV
	s_wait_xcnt 0x0
	s_and_b32 exec_lo, exec_lo, s0
	s_cbranch_execz .LBB42_40
; %bb.38:
	v_mbcnt_lo_u32_b32 v0, exec_lo, 0
	s_delay_alu instid0(VALU_DEP_1)
	v_cmp_eq_u32_e32 vcc_lo, 0, v0
	s_and_b32 exec_lo, exec_lo, vcc_lo
	s_cbranch_execz .LBB42_40
; %bb.39:
	s_add_co_i32 s0, s6, s12
	s_delay_alu instid0(SALU_CYCLE_1)
	v_dual_mov_b32 v0, 0 :: v_dual_mov_b32 v1, s0
	global_atomic_min_i32 v0, v1, s[2:3] scope:SCOPE_DEV
.LBB42_40:
	s_endpgm
	.section	.rodata,"a",@progbits
	.p2align	6, 0x0
	.amdhsa_kernel _ZN9rocsparseL24bsrsm_upper_large_kernelILj256ELj16ELb0E21rocsparse_complex_numIfEEEviiPKiS4_PKT2_iPS5_iPiS4_S9_21rocsparse_index_base_20rocsparse_diag_type_20rocsparse_direction_
		.amdhsa_group_segment_fixed_size 0
		.amdhsa_private_segment_fixed_size 0
		.amdhsa_kernarg_size 92
		.amdhsa_user_sgpr_count 2
		.amdhsa_user_sgpr_dispatch_ptr 0
		.amdhsa_user_sgpr_queue_ptr 0
		.amdhsa_user_sgpr_kernarg_segment_ptr 1
		.amdhsa_user_sgpr_dispatch_id 0
		.amdhsa_user_sgpr_kernarg_preload_length 0
		.amdhsa_user_sgpr_kernarg_preload_offset 0
		.amdhsa_user_sgpr_private_segment_size 0
		.amdhsa_wavefront_size32 1
		.amdhsa_uses_dynamic_stack 0
		.amdhsa_enable_private_segment 0
		.amdhsa_system_sgpr_workgroup_id_x 1
		.amdhsa_system_sgpr_workgroup_id_y 0
		.amdhsa_system_sgpr_workgroup_id_z 0
		.amdhsa_system_sgpr_workgroup_info 0
		.amdhsa_system_vgpr_workitem_id 0
		.amdhsa_next_free_vgpr 18
		.amdhsa_next_free_sgpr 36
		.amdhsa_named_barrier_count 0
		.amdhsa_reserve_vcc 1
		.amdhsa_float_round_mode_32 0
		.amdhsa_float_round_mode_16_64 0
		.amdhsa_float_denorm_mode_32 3
		.amdhsa_float_denorm_mode_16_64 3
		.amdhsa_fp16_overflow 0
		.amdhsa_memory_ordered 1
		.amdhsa_forward_progress 1
		.amdhsa_inst_pref_size 14
		.amdhsa_round_robin_scheduling 0
		.amdhsa_exception_fp_ieee_invalid_op 0
		.amdhsa_exception_fp_denorm_src 0
		.amdhsa_exception_fp_ieee_div_zero 0
		.amdhsa_exception_fp_ieee_overflow 0
		.amdhsa_exception_fp_ieee_underflow 0
		.amdhsa_exception_fp_ieee_inexact 0
		.amdhsa_exception_int_div_zero 0
	.end_amdhsa_kernel
	.section	.text._ZN9rocsparseL24bsrsm_upper_large_kernelILj256ELj16ELb0E21rocsparse_complex_numIfEEEviiPKiS4_PKT2_iPS5_iPiS4_S9_21rocsparse_index_base_20rocsparse_diag_type_20rocsparse_direction_,"axG",@progbits,_ZN9rocsparseL24bsrsm_upper_large_kernelILj256ELj16ELb0E21rocsparse_complex_numIfEEEviiPKiS4_PKT2_iPS5_iPiS4_S9_21rocsparse_index_base_20rocsparse_diag_type_20rocsparse_direction_,comdat
.Lfunc_end42:
	.size	_ZN9rocsparseL24bsrsm_upper_large_kernelILj256ELj16ELb0E21rocsparse_complex_numIfEEEviiPKiS4_PKT2_iPS5_iPiS4_S9_21rocsparse_index_base_20rocsparse_diag_type_20rocsparse_direction_, .Lfunc_end42-_ZN9rocsparseL24bsrsm_upper_large_kernelILj256ELj16ELb0E21rocsparse_complex_numIfEEEviiPKiS4_PKT2_iPS5_iPiS4_S9_21rocsparse_index_base_20rocsparse_diag_type_20rocsparse_direction_
                                        ; -- End function
	.set _ZN9rocsparseL24bsrsm_upper_large_kernelILj256ELj16ELb0E21rocsparse_complex_numIfEEEviiPKiS4_PKT2_iPS5_iPiS4_S9_21rocsparse_index_base_20rocsparse_diag_type_20rocsparse_direction_.num_vgpr, 18
	.set _ZN9rocsparseL24bsrsm_upper_large_kernelILj256ELj16ELb0E21rocsparse_complex_numIfEEEviiPKiS4_PKT2_iPS5_iPiS4_S9_21rocsparse_index_base_20rocsparse_diag_type_20rocsparse_direction_.num_agpr, 0
	.set _ZN9rocsparseL24bsrsm_upper_large_kernelILj256ELj16ELb0E21rocsparse_complex_numIfEEEviiPKiS4_PKT2_iPS5_iPiS4_S9_21rocsparse_index_base_20rocsparse_diag_type_20rocsparse_direction_.numbered_sgpr, 36
	.set _ZN9rocsparseL24bsrsm_upper_large_kernelILj256ELj16ELb0E21rocsparse_complex_numIfEEEviiPKiS4_PKT2_iPS5_iPiS4_S9_21rocsparse_index_base_20rocsparse_diag_type_20rocsparse_direction_.num_named_barrier, 0
	.set _ZN9rocsparseL24bsrsm_upper_large_kernelILj256ELj16ELb0E21rocsparse_complex_numIfEEEviiPKiS4_PKT2_iPS5_iPiS4_S9_21rocsparse_index_base_20rocsparse_diag_type_20rocsparse_direction_.private_seg_size, 0
	.set _ZN9rocsparseL24bsrsm_upper_large_kernelILj256ELj16ELb0E21rocsparse_complex_numIfEEEviiPKiS4_PKT2_iPS5_iPiS4_S9_21rocsparse_index_base_20rocsparse_diag_type_20rocsparse_direction_.uses_vcc, 1
	.set _ZN9rocsparseL24bsrsm_upper_large_kernelILj256ELj16ELb0E21rocsparse_complex_numIfEEEviiPKiS4_PKT2_iPS5_iPiS4_S9_21rocsparse_index_base_20rocsparse_diag_type_20rocsparse_direction_.uses_flat_scratch, 0
	.set _ZN9rocsparseL24bsrsm_upper_large_kernelILj256ELj16ELb0E21rocsparse_complex_numIfEEEviiPKiS4_PKT2_iPS5_iPiS4_S9_21rocsparse_index_base_20rocsparse_diag_type_20rocsparse_direction_.has_dyn_sized_stack, 0
	.set _ZN9rocsparseL24bsrsm_upper_large_kernelILj256ELj16ELb0E21rocsparse_complex_numIfEEEviiPKiS4_PKT2_iPS5_iPiS4_S9_21rocsparse_index_base_20rocsparse_diag_type_20rocsparse_direction_.has_recursion, 0
	.set _ZN9rocsparseL24bsrsm_upper_large_kernelILj256ELj16ELb0E21rocsparse_complex_numIfEEEviiPKiS4_PKT2_iPS5_iPiS4_S9_21rocsparse_index_base_20rocsparse_diag_type_20rocsparse_direction_.has_indirect_call, 0
	.section	.AMDGPU.csdata,"",@progbits
; Kernel info:
; codeLenInByte = 1736
; TotalNumSgprs: 38
; NumVgprs: 18
; ScratchSize: 0
; MemoryBound: 0
; FloatMode: 240
; IeeeMode: 1
; LDSByteSize: 0 bytes/workgroup (compile time only)
; SGPRBlocks: 0
; VGPRBlocks: 1
; NumSGPRsForWavesPerEU: 38
; NumVGPRsForWavesPerEU: 18
; NamedBarCnt: 0
; Occupancy: 16
; WaveLimiterHint : 1
; COMPUTE_PGM_RSRC2:SCRATCH_EN: 0
; COMPUTE_PGM_RSRC2:USER_SGPR: 2
; COMPUTE_PGM_RSRC2:TRAP_HANDLER: 0
; COMPUTE_PGM_RSRC2:TGID_X_EN: 1
; COMPUTE_PGM_RSRC2:TGID_Y_EN: 0
; COMPUTE_PGM_RSRC2:TGID_Z_EN: 0
; COMPUTE_PGM_RSRC2:TIDIG_COMP_CNT: 0
	.section	.text._ZN9rocsparseL24bsrsm_lower_large_kernelILj256ELj16ELb0E21rocsparse_complex_numIfEEEviiPKiS4_PKT2_iPS5_iPiS4_S9_21rocsparse_index_base_20rocsparse_diag_type_20rocsparse_direction_,"axG",@progbits,_ZN9rocsparseL24bsrsm_lower_large_kernelILj256ELj16ELb0E21rocsparse_complex_numIfEEEviiPKiS4_PKT2_iPS5_iPiS4_S9_21rocsparse_index_base_20rocsparse_diag_type_20rocsparse_direction_,comdat
	.globl	_ZN9rocsparseL24bsrsm_lower_large_kernelILj256ELj16ELb0E21rocsparse_complex_numIfEEEviiPKiS4_PKT2_iPS5_iPiS4_S9_21rocsparse_index_base_20rocsparse_diag_type_20rocsparse_direction_ ; -- Begin function _ZN9rocsparseL24bsrsm_lower_large_kernelILj256ELj16ELb0E21rocsparse_complex_numIfEEEviiPKiS4_PKT2_iPS5_iPiS4_S9_21rocsparse_index_base_20rocsparse_diag_type_20rocsparse_direction_
	.p2align	8
	.type	_ZN9rocsparseL24bsrsm_lower_large_kernelILj256ELj16ELb0E21rocsparse_complex_numIfEEEviiPKiS4_PKT2_iPS5_iPiS4_S9_21rocsparse_index_base_20rocsparse_diag_type_20rocsparse_direction_,@function
_ZN9rocsparseL24bsrsm_lower_large_kernelILj256ELj16ELb0E21rocsparse_complex_numIfEEEviiPKiS4_PKT2_iPS5_iPiS4_S9_21rocsparse_index_base_20rocsparse_diag_type_20rocsparse_direction_: ; @_ZN9rocsparseL24bsrsm_lower_large_kernelILj256ELj16ELb0E21rocsparse_complex_numIfEEEviiPKiS4_PKT2_iPS5_iPiS4_S9_21rocsparse_index_base_20rocsparse_diag_type_20rocsparse_direction_
; %bb.0:
	s_clause 0x1
	s_load_b64 s[24:25], s[0:1], 0x0
	s_load_b128 s[8:11], s[0:1], 0x8
	s_bfe_u32 s4, ttmp6, 0x4000c
	s_and_b32 s3, ttmp6, 15
	s_add_co_i32 s4, s4, 1
	s_getreg_b32 s5, hwreg(HW_REG_IB_STS2, 6, 4)
	s_mul_i32 s4, ttmp9, s4
	v_dual_lshrrev_b32 v4, 4, v0 :: v_dual_bitop2_b32 v5, 15, v0 bitop3:0x40
	s_add_co_i32 s3, s3, s4
	s_wait_kmcnt 0x0
	s_cvt_f32_u32 s2, s24
	s_sub_co_i32 s6, 0, s24
	s_delay_alu instid0(SALU_CYCLE_2) | instskip(SKIP_1) | instid1(TRANS32_DEP_1)
	v_rcp_iflag_f32_e32 v1, s2
	v_nop
	v_readfirstlane_b32 s2, v1
	s_mul_f32 s2, s2, 0x4f7ffffe
	s_delay_alu instid0(SALU_CYCLE_3) | instskip(NEXT) | instid1(SALU_CYCLE_3)
	s_cvt_u32_f32 s2, s2
	s_mul_i32 s6, s6, s2
	s_delay_alu instid0(SALU_CYCLE_1) | instskip(NEXT) | instid1(SALU_CYCLE_1)
	s_mul_hi_u32 s6, s2, s6
	s_add_co_i32 s2, s2, s6
	s_cmp_eq_u32 s5, 0
	s_load_b128 s[4:7], s[0:1], 0x38
	s_cselect_b32 s3, ttmp9, s3
	s_delay_alu instid0(SALU_CYCLE_1) | instskip(NEXT) | instid1(SALU_CYCLE_1)
	s_mul_hi_u32 s2, s3, s2
	s_mul_i32 s12, s2, s24
	s_add_co_i32 s13, s2, 1
	s_sub_co_i32 s12, s3, s12
	s_delay_alu instid0(SALU_CYCLE_1)
	s_sub_co_i32 s14, s12, s24
	s_cmp_ge_u32 s12, s24
	s_cselect_b32 s2, s13, s2
	s_cselect_b32 s12, s14, s12
	s_add_co_i32 s13, s2, 1
	s_cmp_ge_u32 s12, s24
	s_cselect_b32 s19, s13, s2
	s_delay_alu instid0(SALU_CYCLE_1) | instskip(SKIP_4) | instid1(SALU_CYCLE_1)
	s_mul_i32 s15, s19, s24
	s_lshl_b32 s19, s19, 4
	s_sub_co_i32 s2, s3, s15
	v_or_b32_e32 v1, s19, v4
	s_ashr_i32 s3, s2, 31
	s_lshl_b64 s[12:13], s[2:3], 2
	s_load_b64 s[2:3], s[0:1], 0x48
	s_wait_kmcnt 0x0
	s_add_nc_u64 s[6:7], s[6:7], s[12:13]
	v_cmp_gt_i32_e32 vcc_lo, s25, v1
	s_load_b32 s6, s[6:7], 0x0
	s_wait_kmcnt 0x0
	s_ashr_i32 s7, s6, 31
	s_delay_alu instid0(SALU_CYCLE_1) | instskip(NEXT) | instid1(SALU_CYCLE_1)
	s_lshl_b64 s[12:13], s[6:7], 2
	s_add_nc_u64 s[26:27], s[8:9], s[12:13]
	s_load_b96 s[12:14], s[0:1], 0x50
	s_load_b64 s[8:9], s[26:27], 0x0
	s_clause 0x1
	s_load_b96 s[16:18], s[0:1], 0x18
	s_load_b96 s[20:22], s[0:1], 0x28
	s_wait_xcnt 0x0
	v_cmp_eq_u32_e64 s0, 0, v0
	s_wait_kmcnt 0x0
	s_sub_co_i32 s23, s8, s12
	s_cmp_ge_i32 s8, s9
	s_mul_i32 s7, s6, s18
	s_mul_i32 s26, s18, s18
	s_cbranch_scc1 .LBB43_18
; %bb.1:
	v_mad_u32 v2, s18, s23, v5
	v_cmp_gt_i32_e64 s1, s18, v5
	s_sub_co_i32 s27, s9, s12
	v_mov_b32_e32 v7, 0
	s_cmp_lg_u32 s14, 0
	s_mul_i32 s30, s22, s18
	s_cselect_b32 s28, -1, 0
	s_and_b32 s1, vcc_lo, s1
	s_lshl_b32 s31, s18, 4
	v_mul_lo_u32 v6, s18, v2
	s_branch .LBB43_3
.LBB43_2:                               ;   in Loop: Header=BB43_3 Depth=1
                                        ; implicit-def: $vgpr6
	s_and_b32 vcc_lo, exec_lo, s8
	s_cbranch_vccnz .LBB43_19
.LBB43_3:                               ; =>This Loop Header: Depth=1
                                        ;     Child Loop BB43_7 Depth 2
                                        ;     Child Loop BB43_11 Depth 2
                                        ;       Child Loop BB43_13 Depth 3
	s_wait_xcnt 0x0
	v_mov_b32_e32 v2, s23
	global_load_b32 v2, v2, s[10:11] scale_offset
	s_wait_loadcnt 0x0
	v_readfirstlane_b32 s8, v2
	s_sub_co_i32 s29, s8, s12
	s_mov_b32 s8, -1
	s_cmp_ge_i32 s29, s6
	s_cbranch_scc1 .LBB43_2
; %bb.4:                                ;   in Loop: Header=BB43_3 Depth=1
	s_wait_xcnt 0x0
	s_and_saveexec_b32 s33, s0
	s_cbranch_execz .LBB43_8
; %bb.5:                                ;   in Loop: Header=BB43_3 Depth=1
	s_add_co_i32 s8, s29, s15
	s_delay_alu instid0(SALU_CYCLE_1)
	v_mov_b32_e32 v2, s8
	global_load_b32 v2, v2, s[4:5] scale_offset scope:SCOPE_DEV
	s_wait_loadcnt 0x0
	v_cmp_ne_u32_e32 vcc_lo, 0, v2
	s_cbranch_vccnz .LBB43_8
; %bb.6:                                ;   in Loop: Header=BB43_3 Depth=1
	s_ashr_i32 s9, s8, 31
	s_delay_alu instid0(SALU_CYCLE_1) | instskip(NEXT) | instid1(SALU_CYCLE_1)
	s_lshl_b64 s[8:9], s[8:9], 2
	s_add_nc_u64 s[8:9], s[4:5], s[8:9]
.LBB43_7:                               ;   Parent Loop BB43_3 Depth=1
                                        ; =>  This Inner Loop Header: Depth=2
	global_load_b32 v2, v7, s[8:9] scope:SCOPE_DEV
	s_wait_loadcnt 0x0
	v_cmp_eq_u32_e32 vcc_lo, 0, v2
	s_cbranch_vccnz .LBB43_7
.LBB43_8:                               ;   in Loop: Header=BB43_3 Depth=1
	s_wait_xcnt 0x0
	s_or_b32 exec_lo, exec_lo, s33
	global_wb scope:SCOPE_DEV
	s_wait_storecnt 0x0
	global_inv scope:SCOPE_DEV
	s_wait_loadcnt 0x0
	s_barrier_signal -1
	s_barrier_wait -1
	s_and_saveexec_b32 s8, s1
	s_cbranch_execz .LBB43_17
; %bb.9:                                ;   in Loop: Header=BB43_3 Depth=1
	v_mad_u32 v8, s30, s29, v1
	v_dual_mov_b32 v9, v6 :: v_dual_mov_b32 v10, v5
	s_mul_i32 s9, s23, s18
	s_mov_b32 s33, 0
	s_branch .LBB43_11
.LBB43_10:                              ;   in Loop: Header=BB43_11 Depth=2
	v_dual_add_nc_u32 v11, s7, v10 :: v_dual_add_nc_u32 v10, 16, v10
	v_add_nc_u32_e32 v9, s31, v9
	s_delay_alu instid0(VALU_DEP_2) | instskip(NEXT) | instid1(VALU_DEP_3)
	v_mad_u32 v11, v11, s22, v1
	v_cmp_le_i32_e32 vcc_lo, s18, v10
	s_or_b32 s33, vcc_lo, s33
	global_load_b64 v[12:13], v11, s[20:21] scale_offset
	s_wait_loadcnt 0x0
	v_pk_add_f32 v[2:3], v[12:13], v[2:3] neg_lo:[0,1] neg_hi:[0,1]
	global_store_b64 v11, v[2:3], s[20:21] scale_offset
	s_wait_xcnt 0x0
	s_and_not1_b32 exec_lo, exec_lo, s33
	s_cbranch_execz .LBB43_17
.LBB43_11:                              ;   Parent Loop BB43_3 Depth=1
                                        ; =>  This Loop Header: Depth=2
                                        ;       Child Loop BB43_13 Depth 3
	s_delay_alu instid0(VALU_DEP_2) | instskip(SKIP_1) | instid1(VALU_DEP_1)
	v_dual_mov_b32 v2, 0 :: v_dual_mov_b32 v11, v8
	s_mov_b32 s34, 0
	v_mov_b32_e32 v3, v2
	s_branch .LBB43_13
.LBB43_12:                              ;   in Loop: Header=BB43_13 Depth=3
	global_load_b64 v[14:15], v11, s[20:21] scale_offset
	global_load_b64 v[16:17], v12, s[16:17] scale_offset
	s_wait_xcnt 0x1
	v_add_nc_u32_e32 v11, s22, v11
	s_add_co_i32 s34, s34, 1
	s_delay_alu instid0(SALU_CYCLE_1) | instskip(SKIP_2) | instid1(VALU_DEP_1)
	s_cmp_eq_u32 s18, s34
	s_wait_loadcnt 0x0
	v_pk_fma_f32 v[2:3], v[16:17], v[14:15], v[2:3] op_sel_hi:[1,0,1]
	v_pk_fma_f32 v[2:3], v[16:17], v[14:15], v[2:3] op_sel:[1,1,0] op_sel_hi:[0,1,1] neg_lo:[1,0,0]
	s_cbranch_scc1 .LBB43_10
.LBB43_13:                              ;   Parent Loop BB43_3 Depth=1
                                        ;     Parent Loop BB43_11 Depth=2
                                        ; =>    This Inner Loop Header: Depth=3
	s_and_b32 vcc_lo, exec_lo, s28
	s_cbranch_vccz .LBB43_15
; %bb.14:                               ;   in Loop: Header=BB43_13 Depth=3
	s_add_co_i32 s35, s34, s9
	s_wait_xcnt 0x0
	v_mad_u32 v12, s35, s18, v10
	s_cbranch_execnz .LBB43_12
	s_branch .LBB43_16
.LBB43_15:                              ;   in Loop: Header=BB43_13 Depth=3
                                        ; implicit-def: $vgpr12
.LBB43_16:                              ;   in Loop: Header=BB43_13 Depth=3
	s_wait_xcnt 0x0
	v_add_nc_u32_e32 v12, s34, v9
	s_branch .LBB43_12
.LBB43_17:                              ;   in Loop: Header=BB43_3 Depth=1
	s_or_b32 exec_lo, exec_lo, s8
	s_add_co_i32 s23, s23, 1
	v_add_nc_u32_e32 v6, s26, v6
	s_cmp_ge_i32 s23, s27
	s_cselect_b32 s8, -1, 0
	s_delay_alu instid0(SALU_CYCLE_1)
	s_and_b32 vcc_lo, exec_lo, s8
	s_cbranch_vccz .LBB43_3
	s_branch .LBB43_19
.LBB43_18:
	s_mov_b32 s29, s24
.LBB43_19:
	s_cmp_lt_i32 s6, s24
	v_cmp_gt_i32_e32 vcc_lo, s25, v1
	s_cselect_b32 s1, -1, 0
	s_cmp_eq_u32 s6, s29
	s_cselect_b32 s0, -1, 0
	s_delay_alu instid0(SALU_CYCLE_1) | instskip(SKIP_2) | instid1(SALU_CYCLE_1)
	s_and_b32 s0, vcc_lo, s0
	s_cmp_gt_i32 s18, 0
	s_cselect_b32 s8, -1, 0
	s_and_b32 s8, s0, s8
	s_mov_b32 s0, 0
	s_and_b32 s9, s8, s1
	s_wait_xcnt 0x0
	s_and_saveexec_b32 s8, s9
	s_cbranch_execz .LBB43_35
; %bb.20:
	v_dual_add_nc_u32 v2, s7, v5 :: v_dual_add_nc_u32 v8, 1, v5
	s_cmp_eq_u32 s13, 0
	s_mov_b32 s9, 0
	s_cselect_b32 s10, -1, 0
	s_delay_alu instid0(VALU_DEP_1)
	v_mad_u32 v2, s22, v2, s22
	s_cmp_lg_u32 s14, 0
	s_mul_i32 s11, s23, s18
	s_cselect_b32 s13, -1, 0
	s_lshl_b32 s14, s22, 4
	s_mov_b32 s24, 0
	s_delay_alu instid0(VALU_DEP_1)
	v_add3_u32 v9, v4, v2, s19
	s_mul_i32 s19, s23, s26
	s_add_co_i32 s23, s18, 1
	s_branch .LBB43_22
.LBB43_21:                              ;   in Loop: Header=BB43_22 Depth=1
	s_or_b32 exec_lo, exec_lo, s0
	v_add_nc_u32_e32 v9, s22, v9
	s_add_co_i32 s9, s9, 1
	s_add_co_i32 s19, s19, s23
	s_cmp_eq_u32 s9, s18
	s_cbranch_scc1 .LBB43_34
.LBB43_22:                              ; =>This Loop Header: Depth=1
                                        ;     Child Loop BB43_30 Depth 2
	s_and_not1_b32 vcc_lo, exec_lo, s10
	s_cbranch_vccz .LBB43_24
; %bb.23:                               ;   in Loop: Header=BB43_22 Depth=1
	v_dual_mov_b32 v4, 1.0 :: v_dual_mov_b32 v5, 0
	s_branch .LBB43_25
.LBB43_24:                              ;   in Loop: Header=BB43_22 Depth=1
	s_add_co_i32 s0, s9, s11
	s_delay_alu instid0(SALU_CYCLE_1) | instskip(NEXT) | instid1(SALU_CYCLE_1)
	s_mul_i32 s0, s0, s18
	s_add_co_i32 s0, s0, s9
	s_wait_loadcnt 0x0
	v_mov_b32_e32 v2, s0
	global_load_b64 v[4:5], v2, s[16:17] scale_offset
.LBB43_25:                              ;   in Loop: Header=BB43_22 Depth=1
	s_add_co_i32 s0, s9, s7
	s_wait_loadcnt 0x0
	s_delay_alu instid0(VALU_DEP_1) | instskip(SKIP_3) | instid1(SALU_CYCLE_1)
	v_cmp_eq_f32_e32 vcc_lo, 0, v4
	v_mad_u32 v6, s0, s22, v1
	v_cmp_eq_f32_e64 s0, 0, v5
	s_and_b32 s0, vcc_lo, s0
	s_and_b32 vcc_lo, exec_lo, s0
	global_load_b64 v[2:3], v6, s[20:21] scale_offset
	s_cbranch_vccnz .LBB43_27
; %bb.26:                               ;   in Loop: Header=BB43_22 Depth=1
	v_mul_f32_e32 v12, v5, v5
	s_delay_alu instid0(VALU_DEP_1) | instskip(NEXT) | instid1(VALU_DEP_1)
	v_fmac_f32_e32 v12, v4, v4
	v_div_scale_f32 v7, null, v12, v12, 1.0
	v_div_scale_f32 v13, vcc_lo, 1.0, v12, 1.0
	s_delay_alu instid0(VALU_DEP_2)
	v_rcp_f32_e32 v11, v7
	v_nop
	v_xor_b32_e32 v7, 0x80000000, v7
	s_delay_alu instid0(TRANS32_DEP_1) | instid1(VALU_DEP_1)
	v_fma_f32 v10, v7, v11, 1.0
	s_delay_alu instid0(VALU_DEP_1) | instskip(NEXT) | instid1(VALU_DEP_1)
	v_fmac_f32_e32 v11, v10, v11
	v_mul_f32_e32 v14, v13, v11
	s_delay_alu instid0(VALU_DEP_1) | instskip(NEXT) | instid1(VALU_DEP_1)
	v_fma_f32 v10, v7, v14, v13
	v_dual_fmac_f32 v14, v10, v11 :: v_dual_mov_b32 v10, v5
	s_delay_alu instid0(VALU_DEP_1) | instskip(SKIP_1) | instid1(VALU_DEP_2)
	v_fmac_f32_e32 v13, v7, v14
	v_ashrrev_i32_e32 v7, 31, v6
	v_div_fmas_f32 v5, v13, v11, v14
	s_wait_loadcnt 0x0
	v_pk_mul_f32 v[10:11], v[10:11], v[2:3] op_sel:[0,1] op_sel_hi:[0,0] neg_hi:[0,1]
	s_delay_alu instid0(VALU_DEP_2) | instskip(NEXT) | instid1(VALU_DEP_2)
	v_div_fixup_f32 v12, v5, v12, 1.0
	v_pk_fma_f32 v[2:3], v[2:3], v[4:5], v[10:11] op_sel_hi:[1,0,1]
	v_lshl_add_u64 v[4:5], v[6:7], 3, s[20:21]
	s_delay_alu instid0(VALU_DEP_2)
	v_pk_mul_f32 v[2:3], v[12:13], v[2:3] op_sel_hi:[0,1]
	global_store_b64 v[4:5], v[2:3], off
	s_wait_xcnt 0x1
	v_add_nc_u32_e32 v6, s9, v8
	s_mov_b32 s0, exec_lo
	s_wait_xcnt 0x0
	s_delay_alu instid0(VALU_DEP_1)
	v_cmpx_gt_i32_e64 s18, v6
	s_cbranch_execz .LBB43_21
	s_branch .LBB43_28
.LBB43_27:                              ;   in Loop: Header=BB43_22 Depth=1
	s_mov_b32 s24, -1
	s_wait_xcnt 0x0
	v_add_nc_u32_e32 v6, s9, v8
	s_mov_b32 s0, exec_lo
	s_delay_alu instid0(VALU_DEP_1)
	v_cmpx_gt_i32_e64 s18, v6
	s_cbranch_execz .LBB43_21
.LBB43_28:                              ;   in Loop: Header=BB43_22 Depth=1
	s_wait_loadcnt 0x0
	v_xor_b32_e32 v4, 0x80000000, v3
	v_dual_mov_b32 v5, v2 :: v_dual_mov_b32 v7, v9
	v_mov_b32_e32 v10, v8
	s_mov_b32 s25, 0
	s_branch .LBB43_30
.LBB43_29:                              ;   in Loop: Header=BB43_30 Depth=2
	global_load_b64 v[12:13], v11, s[16:17] scale_offset
	global_load_b64 v[14:15], v7, s[20:21] scale_offset
	v_add_nc_u32_e32 v10, 16, v10
	v_add_nc_u32_e32 v6, 16, v6
	s_wait_loadcnt 0x1
	v_pk_mul_f32 v[16:17], v[12:13], v[4:5] op_sel:[1,0]
	s_delay_alu instid0(VALU_DEP_1) | instskip(SKIP_1) | instid1(VALU_DEP_1)
	v_pk_fma_f32 v[12:13], v[2:3], v[12:13], v[16:17] op_sel_hi:[1,0,1]
	s_wait_loadcnt 0x0
	v_pk_add_f32 v[12:13], v[14:15], v[12:13] neg_lo:[0,1] neg_hi:[0,1]
	global_store_b64 v7, v[12:13], s[20:21] scale_offset
	s_wait_xcnt 0x0
	v_dual_add_nc_u32 v7, s14, v7 :: v_dual_add_nc_u32 v11, s9, v10
	s_delay_alu instid0(VALU_DEP_1) | instskip(SKIP_1) | instid1(SALU_CYCLE_1)
	v_cmp_le_i32_e32 vcc_lo, s18, v11
	s_or_b32 s25, vcc_lo, s25
	s_and_not1_b32 exec_lo, exec_lo, s25
	s_cbranch_execz .LBB43_21
.LBB43_30:                              ;   Parent Loop BB43_22 Depth=1
                                        ; =>  This Inner Loop Header: Depth=2
	s_and_b32 vcc_lo, exec_lo, s13
	s_cbranch_vccz .LBB43_32
; %bb.31:                               ;   in Loop: Header=BB43_30 Depth=2
	v_add_nc_u32_e32 v11, s19, v10
	s_cbranch_execnz .LBB43_29
	s_branch .LBB43_33
.LBB43_32:                              ;   in Loop: Header=BB43_30 Depth=2
                                        ; implicit-def: $vgpr11
.LBB43_33:                              ;   in Loop: Header=BB43_30 Depth=2
	v_add_nc_u32_e32 v11, s11, v6
	s_delay_alu instid0(VALU_DEP_1)
	v_mad_u32 v11, v11, s18, s9
	s_branch .LBB43_29
.LBB43_34:
	s_and_b32 s0, s24, exec_lo
.LBB43_35:
	s_or_b32 exec_lo, exec_lo, s8
	v_cmp_eq_u32_e32 vcc_lo, 0, v0
	global_wb scope:SCOPE_DEV
	s_wait_loadcnt 0x0
	s_wait_storecnt 0x0
	global_inv scope:SCOPE_DEV
	s_wait_loadcnt 0x0
	s_barrier_signal -1
	s_barrier_wait -1
	s_and_b32 s1, vcc_lo, s1
	s_delay_alu instid0(SALU_CYCLE_1)
	s_and_saveexec_b32 s7, s1
	s_cbranch_execz .LBB43_39
; %bb.36:
	s_add_co_i32 s1, s6, s15
	s_delay_alu instid0(SALU_CYCLE_1)
	v_dual_mov_b32 v0, 1 :: v_dual_mov_b32 v1, s1
	global_store_b32 v1, v0, s[4:5] scale_offset scope:SCOPE_DEV
	s_wait_xcnt 0x0
	s_and_b32 exec_lo, exec_lo, s0
	s_cbranch_execz .LBB43_39
; %bb.37:
	v_mbcnt_lo_u32_b32 v0, exec_lo, 0
	s_delay_alu instid0(VALU_DEP_1)
	v_cmp_eq_u32_e32 vcc_lo, 0, v0
	s_and_b32 exec_lo, exec_lo, vcc_lo
	s_cbranch_execz .LBB43_39
; %bb.38:
	s_add_co_i32 s0, s6, s12
	s_delay_alu instid0(SALU_CYCLE_1)
	v_dual_mov_b32 v0, 0 :: v_dual_mov_b32 v1, s0
	global_atomic_min_i32 v0, v1, s[2:3] scope:SCOPE_DEV
.LBB43_39:
	s_endpgm
	.section	.rodata,"a",@progbits
	.p2align	6, 0x0
	.amdhsa_kernel _ZN9rocsparseL24bsrsm_lower_large_kernelILj256ELj16ELb0E21rocsparse_complex_numIfEEEviiPKiS4_PKT2_iPS5_iPiS4_S9_21rocsparse_index_base_20rocsparse_diag_type_20rocsparse_direction_
		.amdhsa_group_segment_fixed_size 0
		.amdhsa_private_segment_fixed_size 0
		.amdhsa_kernarg_size 92
		.amdhsa_user_sgpr_count 2
		.amdhsa_user_sgpr_dispatch_ptr 0
		.amdhsa_user_sgpr_queue_ptr 0
		.amdhsa_user_sgpr_kernarg_segment_ptr 1
		.amdhsa_user_sgpr_dispatch_id 0
		.amdhsa_user_sgpr_kernarg_preload_length 0
		.amdhsa_user_sgpr_kernarg_preload_offset 0
		.amdhsa_user_sgpr_private_segment_size 0
		.amdhsa_wavefront_size32 1
		.amdhsa_uses_dynamic_stack 0
		.amdhsa_enable_private_segment 0
		.amdhsa_system_sgpr_workgroup_id_x 1
		.amdhsa_system_sgpr_workgroup_id_y 0
		.amdhsa_system_sgpr_workgroup_id_z 0
		.amdhsa_system_sgpr_workgroup_info 0
		.amdhsa_system_vgpr_workitem_id 0
		.amdhsa_next_free_vgpr 18
		.amdhsa_next_free_sgpr 36
		.amdhsa_named_barrier_count 0
		.amdhsa_reserve_vcc 1
		.amdhsa_float_round_mode_32 0
		.amdhsa_float_round_mode_16_64 0
		.amdhsa_float_denorm_mode_32 3
		.amdhsa_float_denorm_mode_16_64 3
		.amdhsa_fp16_overflow 0
		.amdhsa_memory_ordered 1
		.amdhsa_forward_progress 1
		.amdhsa_inst_pref_size 14
		.amdhsa_round_robin_scheduling 0
		.amdhsa_exception_fp_ieee_invalid_op 0
		.amdhsa_exception_fp_denorm_src 0
		.amdhsa_exception_fp_ieee_div_zero 0
		.amdhsa_exception_fp_ieee_overflow 0
		.amdhsa_exception_fp_ieee_underflow 0
		.amdhsa_exception_fp_ieee_inexact 0
		.amdhsa_exception_int_div_zero 0
	.end_amdhsa_kernel
	.section	.text._ZN9rocsparseL24bsrsm_lower_large_kernelILj256ELj16ELb0E21rocsparse_complex_numIfEEEviiPKiS4_PKT2_iPS5_iPiS4_S9_21rocsparse_index_base_20rocsparse_diag_type_20rocsparse_direction_,"axG",@progbits,_ZN9rocsparseL24bsrsm_lower_large_kernelILj256ELj16ELb0E21rocsparse_complex_numIfEEEviiPKiS4_PKT2_iPS5_iPiS4_S9_21rocsparse_index_base_20rocsparse_diag_type_20rocsparse_direction_,comdat
.Lfunc_end43:
	.size	_ZN9rocsparseL24bsrsm_lower_large_kernelILj256ELj16ELb0E21rocsparse_complex_numIfEEEviiPKiS4_PKT2_iPS5_iPiS4_S9_21rocsparse_index_base_20rocsparse_diag_type_20rocsparse_direction_, .Lfunc_end43-_ZN9rocsparseL24bsrsm_lower_large_kernelILj256ELj16ELb0E21rocsparse_complex_numIfEEEviiPKiS4_PKT2_iPS5_iPiS4_S9_21rocsparse_index_base_20rocsparse_diag_type_20rocsparse_direction_
                                        ; -- End function
	.set _ZN9rocsparseL24bsrsm_lower_large_kernelILj256ELj16ELb0E21rocsparse_complex_numIfEEEviiPKiS4_PKT2_iPS5_iPiS4_S9_21rocsparse_index_base_20rocsparse_diag_type_20rocsparse_direction_.num_vgpr, 18
	.set _ZN9rocsparseL24bsrsm_lower_large_kernelILj256ELj16ELb0E21rocsparse_complex_numIfEEEviiPKiS4_PKT2_iPS5_iPiS4_S9_21rocsparse_index_base_20rocsparse_diag_type_20rocsparse_direction_.num_agpr, 0
	.set _ZN9rocsparseL24bsrsm_lower_large_kernelILj256ELj16ELb0E21rocsparse_complex_numIfEEEviiPKiS4_PKT2_iPS5_iPiS4_S9_21rocsparse_index_base_20rocsparse_diag_type_20rocsparse_direction_.numbered_sgpr, 36
	.set _ZN9rocsparseL24bsrsm_lower_large_kernelILj256ELj16ELb0E21rocsparse_complex_numIfEEEviiPKiS4_PKT2_iPS5_iPiS4_S9_21rocsparse_index_base_20rocsparse_diag_type_20rocsparse_direction_.num_named_barrier, 0
	.set _ZN9rocsparseL24bsrsm_lower_large_kernelILj256ELj16ELb0E21rocsparse_complex_numIfEEEviiPKiS4_PKT2_iPS5_iPiS4_S9_21rocsparse_index_base_20rocsparse_diag_type_20rocsparse_direction_.private_seg_size, 0
	.set _ZN9rocsparseL24bsrsm_lower_large_kernelILj256ELj16ELb0E21rocsparse_complex_numIfEEEviiPKiS4_PKT2_iPS5_iPiS4_S9_21rocsparse_index_base_20rocsparse_diag_type_20rocsparse_direction_.uses_vcc, 1
	.set _ZN9rocsparseL24bsrsm_lower_large_kernelILj256ELj16ELb0E21rocsparse_complex_numIfEEEviiPKiS4_PKT2_iPS5_iPiS4_S9_21rocsparse_index_base_20rocsparse_diag_type_20rocsparse_direction_.uses_flat_scratch, 0
	.set _ZN9rocsparseL24bsrsm_lower_large_kernelILj256ELj16ELb0E21rocsparse_complex_numIfEEEviiPKiS4_PKT2_iPS5_iPiS4_S9_21rocsparse_index_base_20rocsparse_diag_type_20rocsparse_direction_.has_dyn_sized_stack, 0
	.set _ZN9rocsparseL24bsrsm_lower_large_kernelILj256ELj16ELb0E21rocsparse_complex_numIfEEEviiPKiS4_PKT2_iPS5_iPiS4_S9_21rocsparse_index_base_20rocsparse_diag_type_20rocsparse_direction_.has_recursion, 0
	.set _ZN9rocsparseL24bsrsm_lower_large_kernelILj256ELj16ELb0E21rocsparse_complex_numIfEEEviiPKiS4_PKT2_iPS5_iPiS4_S9_21rocsparse_index_base_20rocsparse_diag_type_20rocsparse_direction_.has_indirect_call, 0
	.section	.AMDGPU.csdata,"",@progbits
; Kernel info:
; codeLenInByte = 1760
; TotalNumSgprs: 38
; NumVgprs: 18
; ScratchSize: 0
; MemoryBound: 0
; FloatMode: 240
; IeeeMode: 1
; LDSByteSize: 0 bytes/workgroup (compile time only)
; SGPRBlocks: 0
; VGPRBlocks: 1
; NumSGPRsForWavesPerEU: 38
; NumVGPRsForWavesPerEU: 18
; NamedBarCnt: 0
; Occupancy: 16
; WaveLimiterHint : 1
; COMPUTE_PGM_RSRC2:SCRATCH_EN: 0
; COMPUTE_PGM_RSRC2:USER_SGPR: 2
; COMPUTE_PGM_RSRC2:TRAP_HANDLER: 0
; COMPUTE_PGM_RSRC2:TGID_X_EN: 1
; COMPUTE_PGM_RSRC2:TGID_Y_EN: 0
; COMPUTE_PGM_RSRC2:TGID_Z_EN: 0
; COMPUTE_PGM_RSRC2:TIDIG_COMP_CNT: 0
	.section	.text._ZN9rocsparseL24bsrsm_upper_large_kernelILj512ELj16ELb0E21rocsparse_complex_numIfEEEviiPKiS4_PKT2_iPS5_iPiS4_S9_21rocsparse_index_base_20rocsparse_diag_type_20rocsparse_direction_,"axG",@progbits,_ZN9rocsparseL24bsrsm_upper_large_kernelILj512ELj16ELb0E21rocsparse_complex_numIfEEEviiPKiS4_PKT2_iPS5_iPiS4_S9_21rocsparse_index_base_20rocsparse_diag_type_20rocsparse_direction_,comdat
	.globl	_ZN9rocsparseL24bsrsm_upper_large_kernelILj512ELj16ELb0E21rocsparse_complex_numIfEEEviiPKiS4_PKT2_iPS5_iPiS4_S9_21rocsparse_index_base_20rocsparse_diag_type_20rocsparse_direction_ ; -- Begin function _ZN9rocsparseL24bsrsm_upper_large_kernelILj512ELj16ELb0E21rocsparse_complex_numIfEEEviiPKiS4_PKT2_iPS5_iPiS4_S9_21rocsparse_index_base_20rocsparse_diag_type_20rocsparse_direction_
	.p2align	8
	.type	_ZN9rocsparseL24bsrsm_upper_large_kernelILj512ELj16ELb0E21rocsparse_complex_numIfEEEviiPKiS4_PKT2_iPS5_iPiS4_S9_21rocsparse_index_base_20rocsparse_diag_type_20rocsparse_direction_,@function
_ZN9rocsparseL24bsrsm_upper_large_kernelILj512ELj16ELb0E21rocsparse_complex_numIfEEEviiPKiS4_PKT2_iPS5_iPiS4_S9_21rocsparse_index_base_20rocsparse_diag_type_20rocsparse_direction_: ; @_ZN9rocsparseL24bsrsm_upper_large_kernelILj512ELj16ELb0E21rocsparse_complex_numIfEEEviiPKiS4_PKT2_iPS5_iPiS4_S9_21rocsparse_index_base_20rocsparse_diag_type_20rocsparse_direction_
; %bb.0:
	s_clause 0x1
	s_load_b64 s[24:25], s[0:1], 0x0
	s_load_b128 s[8:11], s[0:1], 0x8
	s_bfe_u32 s4, ttmp6, 0x4000c
	s_and_b32 s3, ttmp6, 15
	s_add_co_i32 s4, s4, 1
	s_getreg_b32 s5, hwreg(HW_REG_IB_STS2, 6, 4)
	s_mul_i32 s4, ttmp9, s4
	v_dual_lshrrev_b32 v4, 5, v0 :: v_dual_bitop2_b32 v8, 31, v0 bitop3:0x40
	s_add_co_i32 s3, s3, s4
	s_wait_kmcnt 0x0
	s_cvt_f32_u32 s2, s24
	s_sub_co_i32 s6, 0, s24
	s_delay_alu instid0(SALU_CYCLE_2) | instskip(SKIP_1) | instid1(TRANS32_DEP_1)
	v_rcp_iflag_f32_e32 v1, s2
	v_nop
	v_readfirstlane_b32 s2, v1
	s_mul_f32 s2, s2, 0x4f7ffffe
	s_delay_alu instid0(SALU_CYCLE_3) | instskip(NEXT) | instid1(SALU_CYCLE_3)
	s_cvt_u32_f32 s2, s2
	s_mul_i32 s6, s6, s2
	s_delay_alu instid0(SALU_CYCLE_1) | instskip(NEXT) | instid1(SALU_CYCLE_1)
	s_mul_hi_u32 s6, s2, s6
	s_add_co_i32 s2, s2, s6
	s_cmp_eq_u32 s5, 0
	s_load_b128 s[4:7], s[0:1], 0x38
	s_cselect_b32 s3, ttmp9, s3
	s_delay_alu instid0(SALU_CYCLE_1) | instskip(NEXT) | instid1(SALU_CYCLE_1)
	s_mul_hi_u32 s2, s3, s2
	s_mul_i32 s12, s2, s24
	s_add_co_i32 s13, s2, 1
	s_sub_co_i32 s12, s3, s12
	s_delay_alu instid0(SALU_CYCLE_1)
	s_sub_co_i32 s14, s12, s24
	s_cmp_ge_u32 s12, s24
	s_cselect_b32 s2, s13, s2
	s_cselect_b32 s12, s14, s12
	s_add_co_i32 s13, s2, 1
	s_cmp_ge_u32 s12, s24
	s_cselect_b32 s19, s13, s2
	s_delay_alu instid0(SALU_CYCLE_1) | instskip(SKIP_4) | instid1(SALU_CYCLE_1)
	s_mul_i32 s15, s19, s24
	s_lshl_b32 s19, s19, 4
	s_sub_co_i32 s2, s3, s15
	v_or_b32_e32 v1, s19, v4
	s_ashr_i32 s3, s2, 31
	s_lshl_b64 s[12:13], s[2:3], 2
	s_load_b64 s[2:3], s[0:1], 0x48
	s_wait_kmcnt 0x0
	s_add_nc_u64 s[6:7], s[6:7], s[12:13]
	s_load_b96 s[12:14], s[0:1], 0x50
	v_cmp_gt_i32_e32 vcc_lo, s25, v1
	s_load_b32 s6, s[6:7], 0x0
	s_wait_kmcnt 0x0
	s_ashr_i32 s7, s6, 31
	s_delay_alu instid0(SALU_CYCLE_1) | instskip(NEXT) | instid1(SALU_CYCLE_1)
	s_lshl_b64 s[16:17], s[6:7], 2
	s_add_nc_u64 s[8:9], s[8:9], s[16:17]
	s_load_b64 s[26:27], s[8:9], 0x0
	s_clause 0x1
	s_load_b96 s[16:18], s[0:1], 0x18
	s_load_b96 s[20:22], s[0:1], 0x28
	s_wait_xcnt 0x0
	s_not_b32 s0, s12
	s_wait_kmcnt 0x0
	s_add_co_i32 s23, s27, s0
	v_cmp_eq_u32_e64 s0, 0, v0
	s_sub_co_i32 s26, s26, s12
	s_mul_i32 s7, s6, s18
	s_cmp_lt_i32 s23, s26
	s_cbranch_scc1 .LBB44_18
; %bb.1:
	v_mad_u32 v2, s18, s23, v8
	v_cmp_gt_i32_e64 s1, s18, v8
	v_mov_b32_e32 v6, 0
	s_cmp_lg_u32 s14, 0
	s_mul_i32 s29, s22, s18
	s_cselect_b32 s27, -1, 0
	s_and_b32 s1, vcc_lo, s1
	s_mul_i32 s30, s18, s18
	s_lshl_b32 s31, s18, 5
	v_mul_lo_u32 v5, s18, v2
	s_branch .LBB44_3
.LBB44_2:                               ;   in Loop: Header=BB44_3 Depth=1
                                        ; implicit-def: $vgpr5
	s_cbranch_execnz .LBB44_19
.LBB44_3:                               ; =>This Loop Header: Depth=1
                                        ;     Child Loop BB44_7 Depth 2
                                        ;     Child Loop BB44_11 Depth 2
                                        ;       Child Loop BB44_13 Depth 3
	s_wait_xcnt 0x0
	v_mov_b32_e32 v2, s23
	global_load_b32 v2, v2, s[10:11] scale_offset
	s_wait_loadcnt 0x0
	v_readfirstlane_b32 s8, v2
	s_sub_co_i32 s28, s8, s12
	s_delay_alu instid0(SALU_CYCLE_1)
	s_cmp_le_i32 s28, s6
	s_cbranch_scc1 .LBB44_2
; %bb.4:                                ;   in Loop: Header=BB44_3 Depth=1
	s_wait_xcnt 0x0
	s_and_saveexec_b32 s33, s0
	s_cbranch_execz .LBB44_8
; %bb.5:                                ;   in Loop: Header=BB44_3 Depth=1
	s_add_co_i32 s8, s28, s15
	s_delay_alu instid0(SALU_CYCLE_1)
	v_mov_b32_e32 v2, s8
	global_load_b32 v2, v2, s[4:5] scale_offset scope:SCOPE_DEV
	s_wait_loadcnt 0x0
	v_cmp_ne_u32_e32 vcc_lo, 0, v2
	s_cbranch_vccnz .LBB44_8
; %bb.6:                                ;   in Loop: Header=BB44_3 Depth=1
	s_ashr_i32 s9, s8, 31
	s_delay_alu instid0(SALU_CYCLE_1) | instskip(NEXT) | instid1(SALU_CYCLE_1)
	s_lshl_b64 s[8:9], s[8:9], 2
	s_add_nc_u64 s[8:9], s[4:5], s[8:9]
.LBB44_7:                               ;   Parent Loop BB44_3 Depth=1
                                        ; =>  This Inner Loop Header: Depth=2
	global_load_b32 v2, v6, s[8:9] scope:SCOPE_DEV
	s_wait_loadcnt 0x0
	v_cmp_eq_u32_e32 vcc_lo, 0, v2
	s_cbranch_vccnz .LBB44_7
.LBB44_8:                               ;   in Loop: Header=BB44_3 Depth=1
	s_wait_xcnt 0x0
	s_or_b32 exec_lo, exec_lo, s33
	global_wb scope:SCOPE_DEV
	s_wait_storecnt 0x0
	global_inv scope:SCOPE_DEV
	s_wait_loadcnt 0x0
	s_barrier_signal -1
	s_barrier_wait -1
	s_and_saveexec_b32 s8, s1
	s_cbranch_execz .LBB44_17
; %bb.9:                                ;   in Loop: Header=BB44_3 Depth=1
	v_mad_u32 v7, s29, s28, v1
	v_dual_mov_b32 v9, v5 :: v_dual_mov_b32 v10, v8
	s_mul_i32 s9, s23, s18
	s_mov_b32 s33, 0
	s_branch .LBB44_11
.LBB44_10:                              ;   in Loop: Header=BB44_11 Depth=2
	v_dual_add_nc_u32 v11, s7, v10 :: v_dual_add_nc_u32 v10, 32, v10
	v_add_nc_u32_e32 v9, s31, v9
	s_delay_alu instid0(VALU_DEP_2) | instskip(NEXT) | instid1(VALU_DEP_3)
	v_mad_u32 v11, v11, s22, v1
	v_cmp_le_i32_e32 vcc_lo, s18, v10
	s_or_b32 s33, vcc_lo, s33
	global_load_b64 v[12:13], v11, s[20:21] scale_offset
	s_wait_loadcnt 0x0
	v_pk_add_f32 v[2:3], v[12:13], v[2:3] neg_lo:[0,1] neg_hi:[0,1]
	global_store_b64 v11, v[2:3], s[20:21] scale_offset
	s_wait_xcnt 0x0
	s_and_not1_b32 exec_lo, exec_lo, s33
	s_cbranch_execz .LBB44_17
.LBB44_11:                              ;   Parent Loop BB44_3 Depth=1
                                        ; =>  This Loop Header: Depth=2
                                        ;       Child Loop BB44_13 Depth 3
	s_delay_alu instid0(VALU_DEP_2) | instskip(SKIP_1) | instid1(VALU_DEP_1)
	v_dual_mov_b32 v2, 0 :: v_dual_mov_b32 v11, v7
	s_mov_b32 s34, 0
	v_mov_b32_e32 v3, v2
	s_branch .LBB44_13
.LBB44_12:                              ;   in Loop: Header=BB44_13 Depth=3
	global_load_b64 v[14:15], v11, s[20:21] scale_offset
	global_load_b64 v[16:17], v12, s[16:17] scale_offset
	s_wait_xcnt 0x1
	v_add_nc_u32_e32 v11, s22, v11
	s_add_co_i32 s34, s34, 1
	s_delay_alu instid0(SALU_CYCLE_1) | instskip(SKIP_2) | instid1(VALU_DEP_1)
	s_cmp_eq_u32 s18, s34
	s_wait_loadcnt 0x0
	v_pk_fma_f32 v[2:3], v[16:17], v[14:15], v[2:3] op_sel_hi:[1,0,1]
	v_pk_fma_f32 v[2:3], v[16:17], v[14:15], v[2:3] op_sel:[1,1,0] op_sel_hi:[0,1,1] neg_lo:[1,0,0]
	s_cbranch_scc1 .LBB44_10
.LBB44_13:                              ;   Parent Loop BB44_3 Depth=1
                                        ;     Parent Loop BB44_11 Depth=2
                                        ; =>    This Inner Loop Header: Depth=3
	s_and_b32 vcc_lo, exec_lo, s27
	s_cbranch_vccz .LBB44_15
; %bb.14:                               ;   in Loop: Header=BB44_13 Depth=3
	s_add_co_i32 s35, s34, s9
	s_wait_xcnt 0x0
	v_mad_u32 v12, s35, s18, v10
	s_cbranch_execnz .LBB44_12
	s_branch .LBB44_16
.LBB44_15:                              ;   in Loop: Header=BB44_13 Depth=3
                                        ; implicit-def: $vgpr12
.LBB44_16:                              ;   in Loop: Header=BB44_13 Depth=3
	s_wait_xcnt 0x0
	v_add_nc_u32_e32 v12, s34, v9
	s_branch .LBB44_12
.LBB44_17:                              ;   in Loop: Header=BB44_3 Depth=1
	s_or_b32 exec_lo, exec_lo, s8
	s_add_co_i32 s9, s23, -1
	s_cmp_le_i32 s23, s26
	v_subrev_nc_u32_e32 v5, s30, v5
	s_cselect_b32 s8, -1, 0
	s_mov_b32 s23, s9
	s_and_b32 vcc_lo, exec_lo, s8
	s_cbranch_vccz .LBB44_3
	s_branch .LBB44_19
.LBB44_18:
	s_mov_b32 s28, s24
.LBB44_19:
	s_cmp_lt_i32 s6, s24
	v_cmp_gt_i32_e32 vcc_lo, s25, v1
	s_cselect_b32 s1, -1, 0
	s_cmp_eq_u32 s6, s28
	s_cselect_b32 s0, -1, 0
	s_delay_alu instid0(SALU_CYCLE_1) | instskip(SKIP_2) | instid1(SALU_CYCLE_1)
	s_and_b32 s0, vcc_lo, s0
	s_cmp_gt_i32 s18, 0
	s_cselect_b32 s8, -1, 0
	s_and_b32 s8, s0, s8
	s_mov_b32 s0, 0
	s_and_b32 s9, s8, s1
	s_wait_xcnt 0x0
	s_and_saveexec_b32 s8, s9
	s_cbranch_execz .LBB44_36
; %bb.20:
	v_add_nc_u32_e32 v2, s7, v8
	s_cmp_eq_u32 s13, 0
	s_mov_b32 s11, 0
	s_cselect_b32 s9, -1, 0
	s_cmp_lg_u32 s14, 0
	v_mul_lo_u32 v2, s22, v2
	s_cselect_b32 s10, -1, 0
	s_add_co_i32 s0, s23, 1
	s_mul_i32 s13, s23, s18
	s_mul_i32 s0, s18, s0
	s_lshl_b32 s14, s22, 5
	s_add_co_i32 s0, s0, -1
	s_mov_b32 s23, s18
	s_delay_alu instid0(VALU_DEP_1)
	v_add3_u32 v9, v4, v2, s19
	s_mul_i32 s19, s18, s0
	s_and_not1_b32 vcc_lo, exec_lo, s9
	s_add_co_i32 s24, s23, -1
	s_cbranch_vccz .LBB44_22
.LBB44_21:
	v_dual_mov_b32 v4, 1.0 :: v_dual_mov_b32 v5, 0
	s_branch .LBB44_23
.LBB44_22:
	s_add_co_i32 s0, s24, s13
	s_delay_alu instid0(SALU_CYCLE_1) | instskip(NEXT) | instid1(SALU_CYCLE_1)
	s_mul_i32 s0, s0, s18
	s_add_co_i32 s0, s0, s24
	s_wait_loadcnt 0x0
	v_mov_b32_e32 v2, s0
	global_load_b64 v[4:5], v2, s[16:17] scale_offset
.LBB44_23:
	s_add_co_i32 s0, s24, s7
	s_wait_loadcnt 0x0
	s_delay_alu instid0(VALU_DEP_1) | instskip(SKIP_3) | instid1(SALU_CYCLE_1)
	v_cmp_eq_f32_e32 vcc_lo, 0, v4
	v_mad_u32 v6, s0, s22, v1
	v_cmp_eq_f32_e64 s0, 0, v5
	s_and_b32 s0, vcc_lo, s0
	s_and_b32 vcc_lo, exec_lo, s0
	global_load_b64 v[2:3], v6, s[20:21] scale_offset
	s_cbranch_vccnz .LBB44_25
; %bb.24:
	v_mul_f32_e32 v12, v5, v5
	s_delay_alu instid0(VALU_DEP_1) | instskip(NEXT) | instid1(VALU_DEP_1)
	v_fmac_f32_e32 v12, v4, v4
	v_div_scale_f32 v7, null, v12, v12, 1.0
	v_div_scale_f32 v13, vcc_lo, 1.0, v12, 1.0
	s_delay_alu instid0(VALU_DEP_2)
	v_rcp_f32_e32 v11, v7
	v_nop
	v_xor_b32_e32 v7, 0x80000000, v7
	s_delay_alu instid0(TRANS32_DEP_1) | instid1(VALU_DEP_1)
	v_fma_f32 v10, v7, v11, 1.0
	s_delay_alu instid0(VALU_DEP_1) | instskip(NEXT) | instid1(VALU_DEP_1)
	v_fmac_f32_e32 v11, v10, v11
	v_mul_f32_e32 v14, v13, v11
	s_delay_alu instid0(VALU_DEP_1) | instskip(NEXT) | instid1(VALU_DEP_1)
	v_fma_f32 v10, v7, v14, v13
	v_dual_fmac_f32 v14, v10, v11 :: v_dual_mov_b32 v10, v5
	s_delay_alu instid0(VALU_DEP_1) | instskip(SKIP_1) | instid1(VALU_DEP_2)
	v_fmac_f32_e32 v13, v7, v14
	v_ashrrev_i32_e32 v7, 31, v6
	v_div_fmas_f32 v5, v13, v11, v14
	s_wait_loadcnt 0x0
	v_pk_mul_f32 v[10:11], v[10:11], v[2:3] op_sel:[0,1] op_sel_hi:[0,0] neg_hi:[0,1]
	s_delay_alu instid0(VALU_DEP_2) | instskip(NEXT) | instid1(VALU_DEP_2)
	v_div_fixup_f32 v12, v5, v12, 1.0
	v_pk_fma_f32 v[2:3], v[2:3], v[4:5], v[10:11] op_sel_hi:[1,0,1]
	v_lshl_add_u64 v[4:5], v[6:7], 3, s[20:21]
	s_delay_alu instid0(VALU_DEP_2)
	v_pk_mul_f32 v[2:3], v[12:13], v[2:3] op_sel_hi:[0,1]
	global_store_b64 v[4:5], v[2:3], off
	s_mov_b32 s0, exec_lo
	s_wait_xcnt 0x0
	v_cmpx_gt_i32_e64 s24, v8
	s_cbranch_execnz .LBB44_26
	s_branch .LBB44_32
.LBB44_25:
	s_mov_b32 s11, -1
	s_mov_b32 s0, exec_lo
	s_wait_xcnt 0x0
	v_cmpx_gt_i32_e64 s24, v8
	s_cbranch_execz .LBB44_32
.LBB44_26:
	s_wait_loadcnt 0x0
	v_xor_b32_e32 v4, 0x80000000, v3
	v_dual_mov_b32 v5, v2 :: v_dual_mov_b32 v6, v9
	v_mov_b32_e32 v7, v8
	s_mov_b32 s25, 0
	s_branch .LBB44_28
.LBB44_27:                              ;   in Loop: Header=BB44_28 Depth=1
	global_load_b64 v[12:13], v10, s[16:17] scale_offset
	global_load_b64 v[14:15], v6, s[20:21] scale_offset
	v_add_nc_u32_e32 v7, 32, v7
	s_wait_loadcnt 0x1
	s_wait_xcnt 0x1
	v_pk_mul_f32 v[10:11], v[12:13], v[4:5] op_sel:[1,0]
	s_delay_alu instid0(VALU_DEP_1) | instskip(SKIP_1) | instid1(VALU_DEP_1)
	v_pk_fma_f32 v[10:11], v[2:3], v[12:13], v[10:11] op_sel_hi:[1,0,1]
	s_wait_loadcnt 0x0
	v_pk_add_f32 v[10:11], v[14:15], v[10:11] neg_lo:[0,1] neg_hi:[0,1]
	global_store_b64 v6, v[10:11], s[20:21] scale_offset
	s_wait_xcnt 0x0
	v_add_nc_u32_e32 v6, s14, v6
	v_cmp_le_i32_e32 vcc_lo, s24, v7
	s_or_b32 s25, vcc_lo, s25
	s_delay_alu instid0(SALU_CYCLE_1)
	s_and_not1_b32 exec_lo, exec_lo, s25
	s_cbranch_execz .LBB44_32
.LBB44_28:                              ; =>This Inner Loop Header: Depth=1
	s_and_b32 vcc_lo, exec_lo, s10
	s_cbranch_vccz .LBB44_30
; %bb.29:                               ;   in Loop: Header=BB44_28 Depth=1
	v_add_nc_u32_e32 v10, s19, v7
	s_cbranch_execnz .LBB44_27
	s_branch .LBB44_31
.LBB44_30:                              ;   in Loop: Header=BB44_28 Depth=1
                                        ; implicit-def: $vgpr10
.LBB44_31:                              ;   in Loop: Header=BB44_28 Depth=1
	v_add_nc_u32_e32 v10, s13, v7
	s_delay_alu instid0(VALU_DEP_1)
	v_mad_u32 v10, v10, s18, s24
	s_branch .LBB44_27
.LBB44_32:
	s_or_b32 exec_lo, exec_lo, s0
; %bb.33:
	s_sub_co_i32 s19, s19, s18
	s_cmp_lt_i32 s23, 2
	s_cbranch_scc1 .LBB44_35
; %bb.34:
	s_mov_b32 s23, s24
	s_and_not1_b32 vcc_lo, exec_lo, s9
	s_add_co_i32 s24, s23, -1
	s_cbranch_vccnz .LBB44_21
	s_branch .LBB44_22
.LBB44_35:
	s_and_b32 s0, s11, exec_lo
.LBB44_36:
	s_or_b32 exec_lo, exec_lo, s8
	v_cmp_eq_u32_e32 vcc_lo, 0, v0
	global_wb scope:SCOPE_DEV
	s_wait_loadcnt 0x0
	s_wait_storecnt 0x0
	global_inv scope:SCOPE_DEV
	s_wait_loadcnt 0x0
	s_barrier_signal -1
	s_barrier_wait -1
	s_and_b32 s1, vcc_lo, s1
	s_delay_alu instid0(SALU_CYCLE_1)
	s_and_saveexec_b32 s7, s1
	s_cbranch_execz .LBB44_40
; %bb.37:
	s_add_co_i32 s1, s6, s15
	s_delay_alu instid0(SALU_CYCLE_1)
	v_dual_mov_b32 v0, 1 :: v_dual_mov_b32 v1, s1
	global_store_b32 v1, v0, s[4:5] scale_offset scope:SCOPE_DEV
	s_wait_xcnt 0x0
	s_and_b32 exec_lo, exec_lo, s0
	s_cbranch_execz .LBB44_40
; %bb.38:
	v_mbcnt_lo_u32_b32 v0, exec_lo, 0
	s_delay_alu instid0(VALU_DEP_1)
	v_cmp_eq_u32_e32 vcc_lo, 0, v0
	s_and_b32 exec_lo, exec_lo, vcc_lo
	s_cbranch_execz .LBB44_40
; %bb.39:
	s_add_co_i32 s0, s6, s12
	s_delay_alu instid0(SALU_CYCLE_1)
	v_dual_mov_b32 v0, 0 :: v_dual_mov_b32 v1, s0
	global_atomic_min_i32 v0, v1, s[2:3] scope:SCOPE_DEV
.LBB44_40:
	s_endpgm
	.section	.rodata,"a",@progbits
	.p2align	6, 0x0
	.amdhsa_kernel _ZN9rocsparseL24bsrsm_upper_large_kernelILj512ELj16ELb0E21rocsparse_complex_numIfEEEviiPKiS4_PKT2_iPS5_iPiS4_S9_21rocsparse_index_base_20rocsparse_diag_type_20rocsparse_direction_
		.amdhsa_group_segment_fixed_size 0
		.amdhsa_private_segment_fixed_size 0
		.amdhsa_kernarg_size 92
		.amdhsa_user_sgpr_count 2
		.amdhsa_user_sgpr_dispatch_ptr 0
		.amdhsa_user_sgpr_queue_ptr 0
		.amdhsa_user_sgpr_kernarg_segment_ptr 1
		.amdhsa_user_sgpr_dispatch_id 0
		.amdhsa_user_sgpr_kernarg_preload_length 0
		.amdhsa_user_sgpr_kernarg_preload_offset 0
		.amdhsa_user_sgpr_private_segment_size 0
		.amdhsa_wavefront_size32 1
		.amdhsa_uses_dynamic_stack 0
		.amdhsa_enable_private_segment 0
		.amdhsa_system_sgpr_workgroup_id_x 1
		.amdhsa_system_sgpr_workgroup_id_y 0
		.amdhsa_system_sgpr_workgroup_id_z 0
		.amdhsa_system_sgpr_workgroup_info 0
		.amdhsa_system_vgpr_workitem_id 0
		.amdhsa_next_free_vgpr 18
		.amdhsa_next_free_sgpr 36
		.amdhsa_named_barrier_count 0
		.amdhsa_reserve_vcc 1
		.amdhsa_float_round_mode_32 0
		.amdhsa_float_round_mode_16_64 0
		.amdhsa_float_denorm_mode_32 3
		.amdhsa_float_denorm_mode_16_64 3
		.amdhsa_fp16_overflow 0
		.amdhsa_memory_ordered 1
		.amdhsa_forward_progress 1
		.amdhsa_inst_pref_size 14
		.amdhsa_round_robin_scheduling 0
		.amdhsa_exception_fp_ieee_invalid_op 0
		.amdhsa_exception_fp_denorm_src 0
		.amdhsa_exception_fp_ieee_div_zero 0
		.amdhsa_exception_fp_ieee_overflow 0
		.amdhsa_exception_fp_ieee_underflow 0
		.amdhsa_exception_fp_ieee_inexact 0
		.amdhsa_exception_int_div_zero 0
	.end_amdhsa_kernel
	.section	.text._ZN9rocsparseL24bsrsm_upper_large_kernelILj512ELj16ELb0E21rocsparse_complex_numIfEEEviiPKiS4_PKT2_iPS5_iPiS4_S9_21rocsparse_index_base_20rocsparse_diag_type_20rocsparse_direction_,"axG",@progbits,_ZN9rocsparseL24bsrsm_upper_large_kernelILj512ELj16ELb0E21rocsparse_complex_numIfEEEviiPKiS4_PKT2_iPS5_iPiS4_S9_21rocsparse_index_base_20rocsparse_diag_type_20rocsparse_direction_,comdat
.Lfunc_end44:
	.size	_ZN9rocsparseL24bsrsm_upper_large_kernelILj512ELj16ELb0E21rocsparse_complex_numIfEEEviiPKiS4_PKT2_iPS5_iPiS4_S9_21rocsparse_index_base_20rocsparse_diag_type_20rocsparse_direction_, .Lfunc_end44-_ZN9rocsparseL24bsrsm_upper_large_kernelILj512ELj16ELb0E21rocsparse_complex_numIfEEEviiPKiS4_PKT2_iPS5_iPiS4_S9_21rocsparse_index_base_20rocsparse_diag_type_20rocsparse_direction_
                                        ; -- End function
	.set _ZN9rocsparseL24bsrsm_upper_large_kernelILj512ELj16ELb0E21rocsparse_complex_numIfEEEviiPKiS4_PKT2_iPS5_iPiS4_S9_21rocsparse_index_base_20rocsparse_diag_type_20rocsparse_direction_.num_vgpr, 18
	.set _ZN9rocsparseL24bsrsm_upper_large_kernelILj512ELj16ELb0E21rocsparse_complex_numIfEEEviiPKiS4_PKT2_iPS5_iPiS4_S9_21rocsparse_index_base_20rocsparse_diag_type_20rocsparse_direction_.num_agpr, 0
	.set _ZN9rocsparseL24bsrsm_upper_large_kernelILj512ELj16ELb0E21rocsparse_complex_numIfEEEviiPKiS4_PKT2_iPS5_iPiS4_S9_21rocsparse_index_base_20rocsparse_diag_type_20rocsparse_direction_.numbered_sgpr, 36
	.set _ZN9rocsparseL24bsrsm_upper_large_kernelILj512ELj16ELb0E21rocsparse_complex_numIfEEEviiPKiS4_PKT2_iPS5_iPiS4_S9_21rocsparse_index_base_20rocsparse_diag_type_20rocsparse_direction_.num_named_barrier, 0
	.set _ZN9rocsparseL24bsrsm_upper_large_kernelILj512ELj16ELb0E21rocsparse_complex_numIfEEEviiPKiS4_PKT2_iPS5_iPiS4_S9_21rocsparse_index_base_20rocsparse_diag_type_20rocsparse_direction_.private_seg_size, 0
	.set _ZN9rocsparseL24bsrsm_upper_large_kernelILj512ELj16ELb0E21rocsparse_complex_numIfEEEviiPKiS4_PKT2_iPS5_iPiS4_S9_21rocsparse_index_base_20rocsparse_diag_type_20rocsparse_direction_.uses_vcc, 1
	.set _ZN9rocsparseL24bsrsm_upper_large_kernelILj512ELj16ELb0E21rocsparse_complex_numIfEEEviiPKiS4_PKT2_iPS5_iPiS4_S9_21rocsparse_index_base_20rocsparse_diag_type_20rocsparse_direction_.uses_flat_scratch, 0
	.set _ZN9rocsparseL24bsrsm_upper_large_kernelILj512ELj16ELb0E21rocsparse_complex_numIfEEEviiPKiS4_PKT2_iPS5_iPiS4_S9_21rocsparse_index_base_20rocsparse_diag_type_20rocsparse_direction_.has_dyn_sized_stack, 0
	.set _ZN9rocsparseL24bsrsm_upper_large_kernelILj512ELj16ELb0E21rocsparse_complex_numIfEEEviiPKiS4_PKT2_iPS5_iPiS4_S9_21rocsparse_index_base_20rocsparse_diag_type_20rocsparse_direction_.has_recursion, 0
	.set _ZN9rocsparseL24bsrsm_upper_large_kernelILj512ELj16ELb0E21rocsparse_complex_numIfEEEviiPKiS4_PKT2_iPS5_iPiS4_S9_21rocsparse_index_base_20rocsparse_diag_type_20rocsparse_direction_.has_indirect_call, 0
	.section	.AMDGPU.csdata,"",@progbits
; Kernel info:
; codeLenInByte = 1736
; TotalNumSgprs: 38
; NumVgprs: 18
; ScratchSize: 0
; MemoryBound: 0
; FloatMode: 240
; IeeeMode: 1
; LDSByteSize: 0 bytes/workgroup (compile time only)
; SGPRBlocks: 0
; VGPRBlocks: 1
; NumSGPRsForWavesPerEU: 38
; NumVGPRsForWavesPerEU: 18
; NamedBarCnt: 0
; Occupancy: 16
; WaveLimiterHint : 1
; COMPUTE_PGM_RSRC2:SCRATCH_EN: 0
; COMPUTE_PGM_RSRC2:USER_SGPR: 2
; COMPUTE_PGM_RSRC2:TRAP_HANDLER: 0
; COMPUTE_PGM_RSRC2:TGID_X_EN: 1
; COMPUTE_PGM_RSRC2:TGID_Y_EN: 0
; COMPUTE_PGM_RSRC2:TGID_Z_EN: 0
; COMPUTE_PGM_RSRC2:TIDIG_COMP_CNT: 0
	.section	.text._ZN9rocsparseL24bsrsm_lower_large_kernelILj512ELj16ELb0E21rocsparse_complex_numIfEEEviiPKiS4_PKT2_iPS5_iPiS4_S9_21rocsparse_index_base_20rocsparse_diag_type_20rocsparse_direction_,"axG",@progbits,_ZN9rocsparseL24bsrsm_lower_large_kernelILj512ELj16ELb0E21rocsparse_complex_numIfEEEviiPKiS4_PKT2_iPS5_iPiS4_S9_21rocsparse_index_base_20rocsparse_diag_type_20rocsparse_direction_,comdat
	.globl	_ZN9rocsparseL24bsrsm_lower_large_kernelILj512ELj16ELb0E21rocsparse_complex_numIfEEEviiPKiS4_PKT2_iPS5_iPiS4_S9_21rocsparse_index_base_20rocsparse_diag_type_20rocsparse_direction_ ; -- Begin function _ZN9rocsparseL24bsrsm_lower_large_kernelILj512ELj16ELb0E21rocsparse_complex_numIfEEEviiPKiS4_PKT2_iPS5_iPiS4_S9_21rocsparse_index_base_20rocsparse_diag_type_20rocsparse_direction_
	.p2align	8
	.type	_ZN9rocsparseL24bsrsm_lower_large_kernelILj512ELj16ELb0E21rocsparse_complex_numIfEEEviiPKiS4_PKT2_iPS5_iPiS4_S9_21rocsparse_index_base_20rocsparse_diag_type_20rocsparse_direction_,@function
_ZN9rocsparseL24bsrsm_lower_large_kernelILj512ELj16ELb0E21rocsparse_complex_numIfEEEviiPKiS4_PKT2_iPS5_iPiS4_S9_21rocsparse_index_base_20rocsparse_diag_type_20rocsparse_direction_: ; @_ZN9rocsparseL24bsrsm_lower_large_kernelILj512ELj16ELb0E21rocsparse_complex_numIfEEEviiPKiS4_PKT2_iPS5_iPiS4_S9_21rocsparse_index_base_20rocsparse_diag_type_20rocsparse_direction_
; %bb.0:
	s_clause 0x1
	s_load_b64 s[24:25], s[0:1], 0x0
	s_load_b128 s[8:11], s[0:1], 0x8
	s_bfe_u32 s4, ttmp6, 0x4000c
	s_and_b32 s3, ttmp6, 15
	s_add_co_i32 s4, s4, 1
	s_getreg_b32 s5, hwreg(HW_REG_IB_STS2, 6, 4)
	s_mul_i32 s4, ttmp9, s4
	v_dual_lshrrev_b32 v4, 5, v0 :: v_dual_bitop2_b32 v5, 31, v0 bitop3:0x40
	s_add_co_i32 s3, s3, s4
	s_wait_kmcnt 0x0
	s_cvt_f32_u32 s2, s24
	s_sub_co_i32 s6, 0, s24
	s_delay_alu instid0(SALU_CYCLE_2) | instskip(SKIP_1) | instid1(TRANS32_DEP_1)
	v_rcp_iflag_f32_e32 v1, s2
	v_nop
	v_readfirstlane_b32 s2, v1
	s_mul_f32 s2, s2, 0x4f7ffffe
	s_delay_alu instid0(SALU_CYCLE_3) | instskip(NEXT) | instid1(SALU_CYCLE_3)
	s_cvt_u32_f32 s2, s2
	s_mul_i32 s6, s6, s2
	s_delay_alu instid0(SALU_CYCLE_1) | instskip(NEXT) | instid1(SALU_CYCLE_1)
	s_mul_hi_u32 s6, s2, s6
	s_add_co_i32 s2, s2, s6
	s_cmp_eq_u32 s5, 0
	s_load_b128 s[4:7], s[0:1], 0x38
	s_cselect_b32 s3, ttmp9, s3
	s_delay_alu instid0(SALU_CYCLE_1) | instskip(NEXT) | instid1(SALU_CYCLE_1)
	s_mul_hi_u32 s2, s3, s2
	s_mul_i32 s12, s2, s24
	s_add_co_i32 s13, s2, 1
	s_sub_co_i32 s12, s3, s12
	s_delay_alu instid0(SALU_CYCLE_1)
	s_sub_co_i32 s14, s12, s24
	s_cmp_ge_u32 s12, s24
	s_cselect_b32 s2, s13, s2
	s_cselect_b32 s12, s14, s12
	s_add_co_i32 s13, s2, 1
	s_cmp_ge_u32 s12, s24
	s_cselect_b32 s19, s13, s2
	s_delay_alu instid0(SALU_CYCLE_1) | instskip(SKIP_4) | instid1(SALU_CYCLE_1)
	s_mul_i32 s15, s19, s24
	s_lshl_b32 s19, s19, 4
	s_sub_co_i32 s2, s3, s15
	v_or_b32_e32 v1, s19, v4
	s_ashr_i32 s3, s2, 31
	s_lshl_b64 s[12:13], s[2:3], 2
	s_load_b64 s[2:3], s[0:1], 0x48
	s_wait_kmcnt 0x0
	s_add_nc_u64 s[6:7], s[6:7], s[12:13]
	v_cmp_gt_i32_e32 vcc_lo, s25, v1
	s_load_b32 s6, s[6:7], 0x0
	s_wait_kmcnt 0x0
	s_ashr_i32 s7, s6, 31
	s_delay_alu instid0(SALU_CYCLE_1) | instskip(NEXT) | instid1(SALU_CYCLE_1)
	s_lshl_b64 s[12:13], s[6:7], 2
	s_add_nc_u64 s[26:27], s[8:9], s[12:13]
	s_load_b96 s[12:14], s[0:1], 0x50
	s_load_b64 s[8:9], s[26:27], 0x0
	s_clause 0x1
	s_load_b96 s[16:18], s[0:1], 0x18
	s_load_b96 s[20:22], s[0:1], 0x28
	s_wait_xcnt 0x0
	v_cmp_eq_u32_e64 s0, 0, v0
	s_wait_kmcnt 0x0
	s_sub_co_i32 s23, s8, s12
	s_cmp_ge_i32 s8, s9
	s_mul_i32 s7, s6, s18
	s_mul_i32 s26, s18, s18
	s_cbranch_scc1 .LBB45_18
; %bb.1:
	v_mad_u32 v2, s18, s23, v5
	v_cmp_gt_i32_e64 s1, s18, v5
	s_sub_co_i32 s27, s9, s12
	v_mov_b32_e32 v7, 0
	s_cmp_lg_u32 s14, 0
	s_mul_i32 s30, s22, s18
	s_cselect_b32 s28, -1, 0
	s_and_b32 s1, vcc_lo, s1
	s_lshl_b32 s31, s18, 5
	v_mul_lo_u32 v6, s18, v2
	s_branch .LBB45_3
.LBB45_2:                               ;   in Loop: Header=BB45_3 Depth=1
                                        ; implicit-def: $vgpr6
	s_and_b32 vcc_lo, exec_lo, s8
	s_cbranch_vccnz .LBB45_19
.LBB45_3:                               ; =>This Loop Header: Depth=1
                                        ;     Child Loop BB45_7 Depth 2
                                        ;     Child Loop BB45_11 Depth 2
                                        ;       Child Loop BB45_13 Depth 3
	s_wait_xcnt 0x0
	v_mov_b32_e32 v2, s23
	global_load_b32 v2, v2, s[10:11] scale_offset
	s_wait_loadcnt 0x0
	v_readfirstlane_b32 s8, v2
	s_sub_co_i32 s29, s8, s12
	s_mov_b32 s8, -1
	s_cmp_ge_i32 s29, s6
	s_cbranch_scc1 .LBB45_2
; %bb.4:                                ;   in Loop: Header=BB45_3 Depth=1
	s_wait_xcnt 0x0
	s_and_saveexec_b32 s33, s0
	s_cbranch_execz .LBB45_8
; %bb.5:                                ;   in Loop: Header=BB45_3 Depth=1
	s_add_co_i32 s8, s29, s15
	s_delay_alu instid0(SALU_CYCLE_1)
	v_mov_b32_e32 v2, s8
	global_load_b32 v2, v2, s[4:5] scale_offset scope:SCOPE_DEV
	s_wait_loadcnt 0x0
	v_cmp_ne_u32_e32 vcc_lo, 0, v2
	s_cbranch_vccnz .LBB45_8
; %bb.6:                                ;   in Loop: Header=BB45_3 Depth=1
	s_ashr_i32 s9, s8, 31
	s_delay_alu instid0(SALU_CYCLE_1) | instskip(NEXT) | instid1(SALU_CYCLE_1)
	s_lshl_b64 s[8:9], s[8:9], 2
	s_add_nc_u64 s[8:9], s[4:5], s[8:9]
.LBB45_7:                               ;   Parent Loop BB45_3 Depth=1
                                        ; =>  This Inner Loop Header: Depth=2
	global_load_b32 v2, v7, s[8:9] scope:SCOPE_DEV
	s_wait_loadcnt 0x0
	v_cmp_eq_u32_e32 vcc_lo, 0, v2
	s_cbranch_vccnz .LBB45_7
.LBB45_8:                               ;   in Loop: Header=BB45_3 Depth=1
	s_wait_xcnt 0x0
	s_or_b32 exec_lo, exec_lo, s33
	global_wb scope:SCOPE_DEV
	s_wait_storecnt 0x0
	global_inv scope:SCOPE_DEV
	s_wait_loadcnt 0x0
	s_barrier_signal -1
	s_barrier_wait -1
	s_and_saveexec_b32 s8, s1
	s_cbranch_execz .LBB45_17
; %bb.9:                                ;   in Loop: Header=BB45_3 Depth=1
	v_mad_u32 v8, s30, s29, v1
	v_dual_mov_b32 v9, v6 :: v_dual_mov_b32 v10, v5
	s_mul_i32 s9, s23, s18
	s_mov_b32 s33, 0
	s_branch .LBB45_11
.LBB45_10:                              ;   in Loop: Header=BB45_11 Depth=2
	v_dual_add_nc_u32 v11, s7, v10 :: v_dual_add_nc_u32 v10, 32, v10
	v_add_nc_u32_e32 v9, s31, v9
	s_delay_alu instid0(VALU_DEP_2) | instskip(NEXT) | instid1(VALU_DEP_3)
	v_mad_u32 v11, v11, s22, v1
	v_cmp_le_i32_e32 vcc_lo, s18, v10
	s_or_b32 s33, vcc_lo, s33
	global_load_b64 v[12:13], v11, s[20:21] scale_offset
	s_wait_loadcnt 0x0
	v_pk_add_f32 v[2:3], v[12:13], v[2:3] neg_lo:[0,1] neg_hi:[0,1]
	global_store_b64 v11, v[2:3], s[20:21] scale_offset
	s_wait_xcnt 0x0
	s_and_not1_b32 exec_lo, exec_lo, s33
	s_cbranch_execz .LBB45_17
.LBB45_11:                              ;   Parent Loop BB45_3 Depth=1
                                        ; =>  This Loop Header: Depth=2
                                        ;       Child Loop BB45_13 Depth 3
	s_delay_alu instid0(VALU_DEP_2) | instskip(SKIP_1) | instid1(VALU_DEP_1)
	v_dual_mov_b32 v2, 0 :: v_dual_mov_b32 v11, v8
	s_mov_b32 s34, 0
	v_mov_b32_e32 v3, v2
	s_branch .LBB45_13
.LBB45_12:                              ;   in Loop: Header=BB45_13 Depth=3
	global_load_b64 v[14:15], v11, s[20:21] scale_offset
	global_load_b64 v[16:17], v12, s[16:17] scale_offset
	s_wait_xcnt 0x1
	v_add_nc_u32_e32 v11, s22, v11
	s_add_co_i32 s34, s34, 1
	s_delay_alu instid0(SALU_CYCLE_1) | instskip(SKIP_2) | instid1(VALU_DEP_1)
	s_cmp_eq_u32 s18, s34
	s_wait_loadcnt 0x0
	v_pk_fma_f32 v[2:3], v[16:17], v[14:15], v[2:3] op_sel_hi:[1,0,1]
	v_pk_fma_f32 v[2:3], v[16:17], v[14:15], v[2:3] op_sel:[1,1,0] op_sel_hi:[0,1,1] neg_lo:[1,0,0]
	s_cbranch_scc1 .LBB45_10
.LBB45_13:                              ;   Parent Loop BB45_3 Depth=1
                                        ;     Parent Loop BB45_11 Depth=2
                                        ; =>    This Inner Loop Header: Depth=3
	s_and_b32 vcc_lo, exec_lo, s28
	s_cbranch_vccz .LBB45_15
; %bb.14:                               ;   in Loop: Header=BB45_13 Depth=3
	s_add_co_i32 s35, s34, s9
	s_wait_xcnt 0x0
	v_mad_u32 v12, s35, s18, v10
	s_cbranch_execnz .LBB45_12
	s_branch .LBB45_16
.LBB45_15:                              ;   in Loop: Header=BB45_13 Depth=3
                                        ; implicit-def: $vgpr12
.LBB45_16:                              ;   in Loop: Header=BB45_13 Depth=3
	s_wait_xcnt 0x0
	v_add_nc_u32_e32 v12, s34, v9
	s_branch .LBB45_12
.LBB45_17:                              ;   in Loop: Header=BB45_3 Depth=1
	s_or_b32 exec_lo, exec_lo, s8
	s_add_co_i32 s23, s23, 1
	v_add_nc_u32_e32 v6, s26, v6
	s_cmp_ge_i32 s23, s27
	s_cselect_b32 s8, -1, 0
	s_delay_alu instid0(SALU_CYCLE_1)
	s_and_b32 vcc_lo, exec_lo, s8
	s_cbranch_vccz .LBB45_3
	s_branch .LBB45_19
.LBB45_18:
	s_mov_b32 s29, s24
.LBB45_19:
	s_cmp_lt_i32 s6, s24
	v_cmp_gt_i32_e32 vcc_lo, s25, v1
	s_cselect_b32 s1, -1, 0
	s_cmp_eq_u32 s6, s29
	s_cselect_b32 s0, -1, 0
	s_delay_alu instid0(SALU_CYCLE_1) | instskip(SKIP_2) | instid1(SALU_CYCLE_1)
	s_and_b32 s0, vcc_lo, s0
	s_cmp_gt_i32 s18, 0
	s_cselect_b32 s8, -1, 0
	s_and_b32 s8, s0, s8
	s_mov_b32 s0, 0
	s_and_b32 s9, s8, s1
	s_wait_xcnt 0x0
	s_and_saveexec_b32 s8, s9
	s_cbranch_execz .LBB45_35
; %bb.20:
	v_dual_add_nc_u32 v2, s7, v5 :: v_dual_add_nc_u32 v8, 1, v5
	s_cmp_eq_u32 s13, 0
	s_mov_b32 s9, 0
	s_cselect_b32 s10, -1, 0
	s_delay_alu instid0(VALU_DEP_1)
	v_mad_u32 v2, s22, v2, s22
	s_cmp_lg_u32 s14, 0
	s_mul_i32 s11, s23, s18
	s_cselect_b32 s13, -1, 0
	s_lshl_b32 s14, s22, 5
	s_mov_b32 s24, 0
	s_delay_alu instid0(VALU_DEP_1)
	v_add3_u32 v9, v4, v2, s19
	s_mul_i32 s19, s23, s26
	s_add_co_i32 s23, s18, 1
	s_branch .LBB45_22
.LBB45_21:                              ;   in Loop: Header=BB45_22 Depth=1
	s_or_b32 exec_lo, exec_lo, s0
	v_add_nc_u32_e32 v9, s22, v9
	s_add_co_i32 s9, s9, 1
	s_add_co_i32 s19, s19, s23
	s_cmp_eq_u32 s9, s18
	s_cbranch_scc1 .LBB45_34
.LBB45_22:                              ; =>This Loop Header: Depth=1
                                        ;     Child Loop BB45_30 Depth 2
	s_and_not1_b32 vcc_lo, exec_lo, s10
	s_cbranch_vccz .LBB45_24
; %bb.23:                               ;   in Loop: Header=BB45_22 Depth=1
	v_dual_mov_b32 v4, 1.0 :: v_dual_mov_b32 v5, 0
	s_branch .LBB45_25
.LBB45_24:                              ;   in Loop: Header=BB45_22 Depth=1
	s_add_co_i32 s0, s9, s11
	s_delay_alu instid0(SALU_CYCLE_1) | instskip(NEXT) | instid1(SALU_CYCLE_1)
	s_mul_i32 s0, s0, s18
	s_add_co_i32 s0, s0, s9
	s_wait_loadcnt 0x0
	v_mov_b32_e32 v2, s0
	global_load_b64 v[4:5], v2, s[16:17] scale_offset
.LBB45_25:                              ;   in Loop: Header=BB45_22 Depth=1
	s_add_co_i32 s0, s9, s7
	s_wait_loadcnt 0x0
	s_delay_alu instid0(VALU_DEP_1) | instskip(SKIP_3) | instid1(SALU_CYCLE_1)
	v_cmp_eq_f32_e32 vcc_lo, 0, v4
	v_mad_u32 v6, s0, s22, v1
	v_cmp_eq_f32_e64 s0, 0, v5
	s_and_b32 s0, vcc_lo, s0
	s_and_b32 vcc_lo, exec_lo, s0
	global_load_b64 v[2:3], v6, s[20:21] scale_offset
	s_cbranch_vccnz .LBB45_27
; %bb.26:                               ;   in Loop: Header=BB45_22 Depth=1
	v_mul_f32_e32 v12, v5, v5
	s_delay_alu instid0(VALU_DEP_1) | instskip(NEXT) | instid1(VALU_DEP_1)
	v_fmac_f32_e32 v12, v4, v4
	v_div_scale_f32 v7, null, v12, v12, 1.0
	v_div_scale_f32 v13, vcc_lo, 1.0, v12, 1.0
	s_delay_alu instid0(VALU_DEP_2)
	v_rcp_f32_e32 v11, v7
	v_nop
	v_xor_b32_e32 v7, 0x80000000, v7
	s_delay_alu instid0(TRANS32_DEP_1) | instid1(VALU_DEP_1)
	v_fma_f32 v10, v7, v11, 1.0
	s_delay_alu instid0(VALU_DEP_1) | instskip(NEXT) | instid1(VALU_DEP_1)
	v_fmac_f32_e32 v11, v10, v11
	v_mul_f32_e32 v14, v13, v11
	s_delay_alu instid0(VALU_DEP_1) | instskip(NEXT) | instid1(VALU_DEP_1)
	v_fma_f32 v10, v7, v14, v13
	v_dual_fmac_f32 v14, v10, v11 :: v_dual_mov_b32 v10, v5
	s_delay_alu instid0(VALU_DEP_1) | instskip(SKIP_1) | instid1(VALU_DEP_2)
	v_fmac_f32_e32 v13, v7, v14
	v_ashrrev_i32_e32 v7, 31, v6
	v_div_fmas_f32 v5, v13, v11, v14
	s_wait_loadcnt 0x0
	v_pk_mul_f32 v[10:11], v[10:11], v[2:3] op_sel:[0,1] op_sel_hi:[0,0] neg_hi:[0,1]
	s_delay_alu instid0(VALU_DEP_2) | instskip(NEXT) | instid1(VALU_DEP_2)
	v_div_fixup_f32 v12, v5, v12, 1.0
	v_pk_fma_f32 v[2:3], v[2:3], v[4:5], v[10:11] op_sel_hi:[1,0,1]
	v_lshl_add_u64 v[4:5], v[6:7], 3, s[20:21]
	s_delay_alu instid0(VALU_DEP_2)
	v_pk_mul_f32 v[2:3], v[12:13], v[2:3] op_sel_hi:[0,1]
	global_store_b64 v[4:5], v[2:3], off
	s_wait_xcnt 0x1
	v_add_nc_u32_e32 v6, s9, v8
	s_mov_b32 s0, exec_lo
	s_wait_xcnt 0x0
	s_delay_alu instid0(VALU_DEP_1)
	v_cmpx_gt_i32_e64 s18, v6
	s_cbranch_execz .LBB45_21
	s_branch .LBB45_28
.LBB45_27:                              ;   in Loop: Header=BB45_22 Depth=1
	s_mov_b32 s24, -1
	s_wait_xcnt 0x0
	v_add_nc_u32_e32 v6, s9, v8
	s_mov_b32 s0, exec_lo
	s_delay_alu instid0(VALU_DEP_1)
	v_cmpx_gt_i32_e64 s18, v6
	s_cbranch_execz .LBB45_21
.LBB45_28:                              ;   in Loop: Header=BB45_22 Depth=1
	s_wait_loadcnt 0x0
	v_xor_b32_e32 v4, 0x80000000, v3
	v_dual_mov_b32 v5, v2 :: v_dual_mov_b32 v7, v9
	v_mov_b32_e32 v10, v8
	s_mov_b32 s25, 0
	s_branch .LBB45_30
.LBB45_29:                              ;   in Loop: Header=BB45_30 Depth=2
	global_load_b64 v[12:13], v11, s[16:17] scale_offset
	global_load_b64 v[14:15], v7, s[20:21] scale_offset
	v_add_nc_u32_e32 v10, 32, v10
	v_add_nc_u32_e32 v6, 32, v6
	s_wait_loadcnt 0x1
	v_pk_mul_f32 v[16:17], v[12:13], v[4:5] op_sel:[1,0]
	s_delay_alu instid0(VALU_DEP_1) | instskip(SKIP_1) | instid1(VALU_DEP_1)
	v_pk_fma_f32 v[12:13], v[2:3], v[12:13], v[16:17] op_sel_hi:[1,0,1]
	s_wait_loadcnt 0x0
	v_pk_add_f32 v[12:13], v[14:15], v[12:13] neg_lo:[0,1] neg_hi:[0,1]
	global_store_b64 v7, v[12:13], s[20:21] scale_offset
	s_wait_xcnt 0x0
	v_dual_add_nc_u32 v7, s14, v7 :: v_dual_add_nc_u32 v11, s9, v10
	s_delay_alu instid0(VALU_DEP_1) | instskip(SKIP_1) | instid1(SALU_CYCLE_1)
	v_cmp_le_i32_e32 vcc_lo, s18, v11
	s_or_b32 s25, vcc_lo, s25
	s_and_not1_b32 exec_lo, exec_lo, s25
	s_cbranch_execz .LBB45_21
.LBB45_30:                              ;   Parent Loop BB45_22 Depth=1
                                        ; =>  This Inner Loop Header: Depth=2
	s_and_b32 vcc_lo, exec_lo, s13
	s_cbranch_vccz .LBB45_32
; %bb.31:                               ;   in Loop: Header=BB45_30 Depth=2
	v_add_nc_u32_e32 v11, s19, v10
	s_cbranch_execnz .LBB45_29
	s_branch .LBB45_33
.LBB45_32:                              ;   in Loop: Header=BB45_30 Depth=2
                                        ; implicit-def: $vgpr11
.LBB45_33:                              ;   in Loop: Header=BB45_30 Depth=2
	v_add_nc_u32_e32 v11, s11, v6
	s_delay_alu instid0(VALU_DEP_1)
	v_mad_u32 v11, v11, s18, s9
	s_branch .LBB45_29
.LBB45_34:
	s_and_b32 s0, s24, exec_lo
.LBB45_35:
	s_or_b32 exec_lo, exec_lo, s8
	v_cmp_eq_u32_e32 vcc_lo, 0, v0
	global_wb scope:SCOPE_DEV
	s_wait_loadcnt 0x0
	s_wait_storecnt 0x0
	global_inv scope:SCOPE_DEV
	s_wait_loadcnt 0x0
	s_barrier_signal -1
	s_barrier_wait -1
	s_and_b32 s1, vcc_lo, s1
	s_delay_alu instid0(SALU_CYCLE_1)
	s_and_saveexec_b32 s7, s1
	s_cbranch_execz .LBB45_39
; %bb.36:
	s_add_co_i32 s1, s6, s15
	s_delay_alu instid0(SALU_CYCLE_1)
	v_dual_mov_b32 v0, 1 :: v_dual_mov_b32 v1, s1
	global_store_b32 v1, v0, s[4:5] scale_offset scope:SCOPE_DEV
	s_wait_xcnt 0x0
	s_and_b32 exec_lo, exec_lo, s0
	s_cbranch_execz .LBB45_39
; %bb.37:
	v_mbcnt_lo_u32_b32 v0, exec_lo, 0
	s_delay_alu instid0(VALU_DEP_1)
	v_cmp_eq_u32_e32 vcc_lo, 0, v0
	s_and_b32 exec_lo, exec_lo, vcc_lo
	s_cbranch_execz .LBB45_39
; %bb.38:
	s_add_co_i32 s0, s6, s12
	s_delay_alu instid0(SALU_CYCLE_1)
	v_dual_mov_b32 v0, 0 :: v_dual_mov_b32 v1, s0
	global_atomic_min_i32 v0, v1, s[2:3] scope:SCOPE_DEV
.LBB45_39:
	s_endpgm
	.section	.rodata,"a",@progbits
	.p2align	6, 0x0
	.amdhsa_kernel _ZN9rocsparseL24bsrsm_lower_large_kernelILj512ELj16ELb0E21rocsparse_complex_numIfEEEviiPKiS4_PKT2_iPS5_iPiS4_S9_21rocsparse_index_base_20rocsparse_diag_type_20rocsparse_direction_
		.amdhsa_group_segment_fixed_size 0
		.amdhsa_private_segment_fixed_size 0
		.amdhsa_kernarg_size 92
		.amdhsa_user_sgpr_count 2
		.amdhsa_user_sgpr_dispatch_ptr 0
		.amdhsa_user_sgpr_queue_ptr 0
		.amdhsa_user_sgpr_kernarg_segment_ptr 1
		.amdhsa_user_sgpr_dispatch_id 0
		.amdhsa_user_sgpr_kernarg_preload_length 0
		.amdhsa_user_sgpr_kernarg_preload_offset 0
		.amdhsa_user_sgpr_private_segment_size 0
		.amdhsa_wavefront_size32 1
		.amdhsa_uses_dynamic_stack 0
		.amdhsa_enable_private_segment 0
		.amdhsa_system_sgpr_workgroup_id_x 1
		.amdhsa_system_sgpr_workgroup_id_y 0
		.amdhsa_system_sgpr_workgroup_id_z 0
		.amdhsa_system_sgpr_workgroup_info 0
		.amdhsa_system_vgpr_workitem_id 0
		.amdhsa_next_free_vgpr 18
		.amdhsa_next_free_sgpr 36
		.amdhsa_named_barrier_count 0
		.amdhsa_reserve_vcc 1
		.amdhsa_float_round_mode_32 0
		.amdhsa_float_round_mode_16_64 0
		.amdhsa_float_denorm_mode_32 3
		.amdhsa_float_denorm_mode_16_64 3
		.amdhsa_fp16_overflow 0
		.amdhsa_memory_ordered 1
		.amdhsa_forward_progress 1
		.amdhsa_inst_pref_size 14
		.amdhsa_round_robin_scheduling 0
		.amdhsa_exception_fp_ieee_invalid_op 0
		.amdhsa_exception_fp_denorm_src 0
		.amdhsa_exception_fp_ieee_div_zero 0
		.amdhsa_exception_fp_ieee_overflow 0
		.amdhsa_exception_fp_ieee_underflow 0
		.amdhsa_exception_fp_ieee_inexact 0
		.amdhsa_exception_int_div_zero 0
	.end_amdhsa_kernel
	.section	.text._ZN9rocsparseL24bsrsm_lower_large_kernelILj512ELj16ELb0E21rocsparse_complex_numIfEEEviiPKiS4_PKT2_iPS5_iPiS4_S9_21rocsparse_index_base_20rocsparse_diag_type_20rocsparse_direction_,"axG",@progbits,_ZN9rocsparseL24bsrsm_lower_large_kernelILj512ELj16ELb0E21rocsparse_complex_numIfEEEviiPKiS4_PKT2_iPS5_iPiS4_S9_21rocsparse_index_base_20rocsparse_diag_type_20rocsparse_direction_,comdat
.Lfunc_end45:
	.size	_ZN9rocsparseL24bsrsm_lower_large_kernelILj512ELj16ELb0E21rocsparse_complex_numIfEEEviiPKiS4_PKT2_iPS5_iPiS4_S9_21rocsparse_index_base_20rocsparse_diag_type_20rocsparse_direction_, .Lfunc_end45-_ZN9rocsparseL24bsrsm_lower_large_kernelILj512ELj16ELb0E21rocsparse_complex_numIfEEEviiPKiS4_PKT2_iPS5_iPiS4_S9_21rocsparse_index_base_20rocsparse_diag_type_20rocsparse_direction_
                                        ; -- End function
	.set _ZN9rocsparseL24bsrsm_lower_large_kernelILj512ELj16ELb0E21rocsparse_complex_numIfEEEviiPKiS4_PKT2_iPS5_iPiS4_S9_21rocsparse_index_base_20rocsparse_diag_type_20rocsparse_direction_.num_vgpr, 18
	.set _ZN9rocsparseL24bsrsm_lower_large_kernelILj512ELj16ELb0E21rocsparse_complex_numIfEEEviiPKiS4_PKT2_iPS5_iPiS4_S9_21rocsparse_index_base_20rocsparse_diag_type_20rocsparse_direction_.num_agpr, 0
	.set _ZN9rocsparseL24bsrsm_lower_large_kernelILj512ELj16ELb0E21rocsparse_complex_numIfEEEviiPKiS4_PKT2_iPS5_iPiS4_S9_21rocsparse_index_base_20rocsparse_diag_type_20rocsparse_direction_.numbered_sgpr, 36
	.set _ZN9rocsparseL24bsrsm_lower_large_kernelILj512ELj16ELb0E21rocsparse_complex_numIfEEEviiPKiS4_PKT2_iPS5_iPiS4_S9_21rocsparse_index_base_20rocsparse_diag_type_20rocsparse_direction_.num_named_barrier, 0
	.set _ZN9rocsparseL24bsrsm_lower_large_kernelILj512ELj16ELb0E21rocsparse_complex_numIfEEEviiPKiS4_PKT2_iPS5_iPiS4_S9_21rocsparse_index_base_20rocsparse_diag_type_20rocsparse_direction_.private_seg_size, 0
	.set _ZN9rocsparseL24bsrsm_lower_large_kernelILj512ELj16ELb0E21rocsparse_complex_numIfEEEviiPKiS4_PKT2_iPS5_iPiS4_S9_21rocsparse_index_base_20rocsparse_diag_type_20rocsparse_direction_.uses_vcc, 1
	.set _ZN9rocsparseL24bsrsm_lower_large_kernelILj512ELj16ELb0E21rocsparse_complex_numIfEEEviiPKiS4_PKT2_iPS5_iPiS4_S9_21rocsparse_index_base_20rocsparse_diag_type_20rocsparse_direction_.uses_flat_scratch, 0
	.set _ZN9rocsparseL24bsrsm_lower_large_kernelILj512ELj16ELb0E21rocsparse_complex_numIfEEEviiPKiS4_PKT2_iPS5_iPiS4_S9_21rocsparse_index_base_20rocsparse_diag_type_20rocsparse_direction_.has_dyn_sized_stack, 0
	.set _ZN9rocsparseL24bsrsm_lower_large_kernelILj512ELj16ELb0E21rocsparse_complex_numIfEEEviiPKiS4_PKT2_iPS5_iPiS4_S9_21rocsparse_index_base_20rocsparse_diag_type_20rocsparse_direction_.has_recursion, 0
	.set _ZN9rocsparseL24bsrsm_lower_large_kernelILj512ELj16ELb0E21rocsparse_complex_numIfEEEviiPKiS4_PKT2_iPS5_iPiS4_S9_21rocsparse_index_base_20rocsparse_diag_type_20rocsparse_direction_.has_indirect_call, 0
	.section	.AMDGPU.csdata,"",@progbits
; Kernel info:
; codeLenInByte = 1760
; TotalNumSgprs: 38
; NumVgprs: 18
; ScratchSize: 0
; MemoryBound: 0
; FloatMode: 240
; IeeeMode: 1
; LDSByteSize: 0 bytes/workgroup (compile time only)
; SGPRBlocks: 0
; VGPRBlocks: 1
; NumSGPRsForWavesPerEU: 38
; NumVGPRsForWavesPerEU: 18
; NamedBarCnt: 0
; Occupancy: 16
; WaveLimiterHint : 1
; COMPUTE_PGM_RSRC2:SCRATCH_EN: 0
; COMPUTE_PGM_RSRC2:USER_SGPR: 2
; COMPUTE_PGM_RSRC2:TRAP_HANDLER: 0
; COMPUTE_PGM_RSRC2:TGID_X_EN: 1
; COMPUTE_PGM_RSRC2:TGID_Y_EN: 0
; COMPUTE_PGM_RSRC2:TGID_Z_EN: 0
; COMPUTE_PGM_RSRC2:TIDIG_COMP_CNT: 0
	.section	.text._ZN9rocsparseL24bsrsm_upper_large_kernelILj1024ELj16ELb0E21rocsparse_complex_numIfEEEviiPKiS4_PKT2_iPS5_iPiS4_S9_21rocsparse_index_base_20rocsparse_diag_type_20rocsparse_direction_,"axG",@progbits,_ZN9rocsparseL24bsrsm_upper_large_kernelILj1024ELj16ELb0E21rocsparse_complex_numIfEEEviiPKiS4_PKT2_iPS5_iPiS4_S9_21rocsparse_index_base_20rocsparse_diag_type_20rocsparse_direction_,comdat
	.globl	_ZN9rocsparseL24bsrsm_upper_large_kernelILj1024ELj16ELb0E21rocsparse_complex_numIfEEEviiPKiS4_PKT2_iPS5_iPiS4_S9_21rocsparse_index_base_20rocsparse_diag_type_20rocsparse_direction_ ; -- Begin function _ZN9rocsparseL24bsrsm_upper_large_kernelILj1024ELj16ELb0E21rocsparse_complex_numIfEEEviiPKiS4_PKT2_iPS5_iPiS4_S9_21rocsparse_index_base_20rocsparse_diag_type_20rocsparse_direction_
	.p2align	8
	.type	_ZN9rocsparseL24bsrsm_upper_large_kernelILj1024ELj16ELb0E21rocsparse_complex_numIfEEEviiPKiS4_PKT2_iPS5_iPiS4_S9_21rocsparse_index_base_20rocsparse_diag_type_20rocsparse_direction_,@function
_ZN9rocsparseL24bsrsm_upper_large_kernelILj1024ELj16ELb0E21rocsparse_complex_numIfEEEviiPKiS4_PKT2_iPS5_iPiS4_S9_21rocsparse_index_base_20rocsparse_diag_type_20rocsparse_direction_: ; @_ZN9rocsparseL24bsrsm_upper_large_kernelILj1024ELj16ELb0E21rocsparse_complex_numIfEEEviiPKiS4_PKT2_iPS5_iPiS4_S9_21rocsparse_index_base_20rocsparse_diag_type_20rocsparse_direction_
; %bb.0:
	s_clause 0x1
	s_load_b64 s[24:25], s[0:1], 0x0
	s_load_b128 s[8:11], s[0:1], 0x8
	s_bfe_u32 s4, ttmp6, 0x4000c
	s_and_b32 s3, ttmp6, 15
	s_add_co_i32 s4, s4, 1
	s_getreg_b32 s5, hwreg(HW_REG_IB_STS2, 6, 4)
	s_mul_i32 s4, ttmp9, s4
	v_dual_lshrrev_b32 v4, 6, v0 :: v_dual_bitop2_b32 v8, 63, v0 bitop3:0x40
	s_add_co_i32 s3, s3, s4
	s_wait_kmcnt 0x0
	s_cvt_f32_u32 s2, s24
	s_sub_co_i32 s6, 0, s24
	s_delay_alu instid0(SALU_CYCLE_2) | instskip(SKIP_1) | instid1(TRANS32_DEP_1)
	v_rcp_iflag_f32_e32 v1, s2
	v_nop
	v_readfirstlane_b32 s2, v1
	s_mul_f32 s2, s2, 0x4f7ffffe
	s_delay_alu instid0(SALU_CYCLE_3) | instskip(NEXT) | instid1(SALU_CYCLE_3)
	s_cvt_u32_f32 s2, s2
	s_mul_i32 s6, s6, s2
	s_delay_alu instid0(SALU_CYCLE_1) | instskip(NEXT) | instid1(SALU_CYCLE_1)
	s_mul_hi_u32 s6, s2, s6
	s_add_co_i32 s2, s2, s6
	s_cmp_eq_u32 s5, 0
	s_load_b128 s[4:7], s[0:1], 0x38
	s_cselect_b32 s3, ttmp9, s3
	s_delay_alu instid0(SALU_CYCLE_1) | instskip(NEXT) | instid1(SALU_CYCLE_1)
	s_mul_hi_u32 s2, s3, s2
	s_mul_i32 s12, s2, s24
	s_add_co_i32 s13, s2, 1
	s_sub_co_i32 s12, s3, s12
	s_delay_alu instid0(SALU_CYCLE_1)
	s_sub_co_i32 s14, s12, s24
	s_cmp_ge_u32 s12, s24
	s_cselect_b32 s2, s13, s2
	s_cselect_b32 s12, s14, s12
	s_add_co_i32 s13, s2, 1
	s_cmp_ge_u32 s12, s24
	s_cselect_b32 s19, s13, s2
	s_delay_alu instid0(SALU_CYCLE_1) | instskip(SKIP_4) | instid1(SALU_CYCLE_1)
	s_mul_i32 s15, s19, s24
	s_lshl_b32 s19, s19, 4
	s_sub_co_i32 s2, s3, s15
	v_or_b32_e32 v1, s19, v4
	s_ashr_i32 s3, s2, 31
	s_lshl_b64 s[12:13], s[2:3], 2
	s_load_b64 s[2:3], s[0:1], 0x48
	s_wait_kmcnt 0x0
	s_add_nc_u64 s[6:7], s[6:7], s[12:13]
	s_load_b96 s[12:14], s[0:1], 0x50
	v_cmp_gt_i32_e32 vcc_lo, s25, v1
	s_load_b32 s6, s[6:7], 0x0
	s_wait_kmcnt 0x0
	s_ashr_i32 s7, s6, 31
	s_delay_alu instid0(SALU_CYCLE_1) | instskip(NEXT) | instid1(SALU_CYCLE_1)
	s_lshl_b64 s[16:17], s[6:7], 2
	s_add_nc_u64 s[8:9], s[8:9], s[16:17]
	s_load_b64 s[26:27], s[8:9], 0x0
	s_clause 0x1
	s_load_b96 s[16:18], s[0:1], 0x18
	s_load_b96 s[20:22], s[0:1], 0x28
	s_wait_xcnt 0x0
	s_not_b32 s0, s12
	s_wait_kmcnt 0x0
	s_add_co_i32 s23, s27, s0
	v_cmp_eq_u32_e64 s0, 0, v0
	s_sub_co_i32 s26, s26, s12
	s_mul_i32 s7, s6, s18
	s_cmp_lt_i32 s23, s26
	s_cbranch_scc1 .LBB46_18
; %bb.1:
	v_mad_u32 v2, s18, s23, v8
	v_cmp_gt_i32_e64 s1, s18, v8
	v_dual_add_nc_u32 v5, s19, v4 :: v_dual_mov_b32 v7, 0
	s_cmp_lg_u32 s14, 0
	s_mul_i32 s28, s22, s18
	s_cselect_b32 s27, -1, 0
	s_and_b32 s1, vcc_lo, s1
	s_mul_i32 s29, s18, s18
	s_lshl_b32 s30, s18, 6
	v_mul_lo_u32 v6, s18, v2
	s_branch .LBB46_3
.LBB46_2:                               ;   in Loop: Header=BB46_3 Depth=1
                                        ; implicit-def: $vgpr6
	s_cbranch_execnz .LBB46_19
.LBB46_3:                               ; =>This Loop Header: Depth=1
                                        ;     Child Loop BB46_7 Depth 2
                                        ;     Child Loop BB46_11 Depth 2
                                        ;       Child Loop BB46_13 Depth 3
	s_wait_xcnt 0x0
	v_mov_b32_e32 v2, s23
	global_load_b32 v2, v2, s[10:11] scale_offset
	s_wait_loadcnt 0x0
	v_readfirstlane_b32 s8, v2
	s_sub_co_i32 s31, s8, s12
	s_delay_alu instid0(SALU_CYCLE_1)
	s_cmp_le_i32 s31, s6
	s_cbranch_scc1 .LBB46_2
; %bb.4:                                ;   in Loop: Header=BB46_3 Depth=1
	s_wait_xcnt 0x0
	s_and_saveexec_b32 s33, s0
	s_cbranch_execz .LBB46_8
; %bb.5:                                ;   in Loop: Header=BB46_3 Depth=1
	s_add_co_i32 s8, s31, s15
	s_delay_alu instid0(SALU_CYCLE_1)
	v_mov_b32_e32 v2, s8
	global_load_b32 v2, v2, s[4:5] scale_offset scope:SCOPE_DEV
	s_wait_loadcnt 0x0
	v_cmp_ne_u32_e32 vcc_lo, 0, v2
	s_cbranch_vccnz .LBB46_8
; %bb.6:                                ;   in Loop: Header=BB46_3 Depth=1
	s_ashr_i32 s9, s8, 31
	s_delay_alu instid0(SALU_CYCLE_1) | instskip(NEXT) | instid1(SALU_CYCLE_1)
	s_lshl_b64 s[8:9], s[8:9], 2
	s_add_nc_u64 s[8:9], s[4:5], s[8:9]
.LBB46_7:                               ;   Parent Loop BB46_3 Depth=1
                                        ; =>  This Inner Loop Header: Depth=2
	global_load_b32 v2, v7, s[8:9] scope:SCOPE_DEV
	s_wait_loadcnt 0x0
	v_cmp_eq_u32_e32 vcc_lo, 0, v2
	s_cbranch_vccnz .LBB46_7
.LBB46_8:                               ;   in Loop: Header=BB46_3 Depth=1
	s_wait_xcnt 0x0
	s_or_b32 exec_lo, exec_lo, s33
	global_wb scope:SCOPE_DEV
	s_wait_storecnt 0x0
	global_inv scope:SCOPE_DEV
	s_wait_loadcnt 0x0
	s_barrier_signal -1
	s_barrier_wait -1
	s_and_saveexec_b32 s8, s1
	s_cbranch_execz .LBB46_17
; %bb.9:                                ;   in Loop: Header=BB46_3 Depth=1
	v_mad_u32 v9, s28, s31, v5
	v_dual_mov_b32 v10, v6 :: v_dual_mov_b32 v11, v8
	s_mul_i32 s9, s23, s18
	s_mov_b32 s33, 0
	s_branch .LBB46_11
.LBB46_10:                              ;   in Loop: Header=BB46_11 Depth=2
	v_dual_add_nc_u32 v12, s7, v11 :: v_dual_add_nc_u32 v11, 64, v11
	v_add_nc_u32_e32 v10, s30, v10
	s_delay_alu instid0(VALU_DEP_2) | instskip(NEXT) | instid1(VALU_DEP_3)
	v_mad_u32 v14, v12, s22, v1
	v_cmp_le_i32_e32 vcc_lo, s18, v11
	s_or_b32 s33, vcc_lo, s33
	global_load_b64 v[12:13], v14, s[20:21] scale_offset
	s_wait_loadcnt 0x0
	v_pk_add_f32 v[2:3], v[12:13], v[2:3] neg_lo:[0,1] neg_hi:[0,1]
	global_store_b64 v14, v[2:3], s[20:21] scale_offset
	s_wait_xcnt 0x0
	s_and_not1_b32 exec_lo, exec_lo, s33
	s_cbranch_execz .LBB46_17
.LBB46_11:                              ;   Parent Loop BB46_3 Depth=1
                                        ; =>  This Loop Header: Depth=2
                                        ;       Child Loop BB46_13 Depth 3
	s_delay_alu instid0(VALU_DEP_2) | instskip(SKIP_1) | instid1(VALU_DEP_1)
	v_dual_mov_b32 v2, 0 :: v_dual_mov_b32 v12, v9
	s_mov_b32 s34, 0
	v_mov_b32_e32 v3, v2
	s_branch .LBB46_13
.LBB46_12:                              ;   in Loop: Header=BB46_13 Depth=3
	global_load_b64 v[14:15], v12, s[20:21] scale_offset
	global_load_b64 v[16:17], v13, s[16:17] scale_offset
	s_wait_xcnt 0x1
	v_add_nc_u32_e32 v12, s22, v12
	s_add_co_i32 s34, s34, 1
	s_delay_alu instid0(SALU_CYCLE_1) | instskip(SKIP_2) | instid1(VALU_DEP_1)
	s_cmp_eq_u32 s18, s34
	s_wait_loadcnt 0x0
	v_pk_fma_f32 v[2:3], v[16:17], v[14:15], v[2:3] op_sel_hi:[1,0,1]
	v_pk_fma_f32 v[2:3], v[16:17], v[14:15], v[2:3] op_sel:[1,1,0] op_sel_hi:[0,1,1] neg_lo:[1,0,0]
	s_cbranch_scc1 .LBB46_10
.LBB46_13:                              ;   Parent Loop BB46_3 Depth=1
                                        ;     Parent Loop BB46_11 Depth=2
                                        ; =>    This Inner Loop Header: Depth=3
	s_and_b32 vcc_lo, exec_lo, s27
	s_cbranch_vccz .LBB46_15
; %bb.14:                               ;   in Loop: Header=BB46_13 Depth=3
	s_add_co_i32 s35, s34, s9
	s_wait_xcnt 0x0
	v_mad_u32 v13, s35, s18, v11
	s_cbranch_execnz .LBB46_12
	s_branch .LBB46_16
.LBB46_15:                              ;   in Loop: Header=BB46_13 Depth=3
                                        ; implicit-def: $vgpr13
.LBB46_16:                              ;   in Loop: Header=BB46_13 Depth=3
	s_wait_xcnt 0x0
	v_add_nc_u32_e32 v13, s34, v10
	s_branch .LBB46_12
.LBB46_17:                              ;   in Loop: Header=BB46_3 Depth=1
	s_or_b32 exec_lo, exec_lo, s8
	s_add_co_i32 s9, s23, -1
	s_cmp_le_i32 s23, s26
	v_subrev_nc_u32_e32 v6, s29, v6
	s_cselect_b32 s8, -1, 0
	s_mov_b32 s23, s9
	s_and_b32 vcc_lo, exec_lo, s8
	s_cbranch_vccz .LBB46_3
	s_branch .LBB46_19
.LBB46_18:
	s_mov_b32 s31, s24
.LBB46_19:
	s_cmp_lt_i32 s6, s24
	v_cmp_gt_i32_e32 vcc_lo, s25, v1
	s_cselect_b32 s1, -1, 0
	s_cmp_eq_u32 s6, s31
	s_cselect_b32 s0, -1, 0
	s_delay_alu instid0(SALU_CYCLE_1) | instskip(NEXT) | instid1(SALU_CYCLE_1)
	s_and_b32 s0, s1, s0
	s_and_b32 s8, s0, vcc_lo
	s_cmp_gt_i32 s18, 0
	s_mov_b32 s0, 0
	s_cselect_b32 s9, -1, 0
	s_delay_alu instid0(SALU_CYCLE_1)
	s_and_b32 s9, s8, s9
	s_wait_xcnt 0x0
	s_and_saveexec_b32 s8, s9
	s_cbranch_execz .LBB46_36
; %bb.20:
	v_add_nc_u32_e32 v2, s7, v8
	s_cmp_eq_u32 s13, 0
	s_mov_b32 s11, 0
	s_cselect_b32 s9, -1, 0
	s_cmp_lg_u32 s14, 0
	v_mul_lo_u32 v2, s22, v2
	s_cselect_b32 s10, -1, 0
	s_add_co_i32 s0, s23, 1
	s_mul_i32 s13, s23, s18
	s_mul_i32 s0, s18, s0
	s_lshl_b32 s14, s22, 6
	s_add_co_i32 s0, s0, -1
	s_mov_b32 s23, s18
	s_delay_alu instid0(VALU_DEP_1)
	v_add3_u32 v9, v4, v2, s19
	s_mul_i32 s19, s18, s0
	s_and_not1_b32 vcc_lo, exec_lo, s9
	s_add_co_i32 s24, s23, -1
	s_cbranch_vccz .LBB46_22
.LBB46_21:
	v_dual_mov_b32 v4, 1.0 :: v_dual_mov_b32 v5, 0
	s_branch .LBB46_23
.LBB46_22:
	s_add_co_i32 s0, s24, s13
	s_delay_alu instid0(SALU_CYCLE_1) | instskip(NEXT) | instid1(SALU_CYCLE_1)
	s_mul_i32 s0, s0, s18
	s_add_co_i32 s0, s0, s24
	s_wait_loadcnt 0x0
	v_mov_b32_e32 v2, s0
	global_load_b64 v[4:5], v2, s[16:17] scale_offset
.LBB46_23:
	s_add_co_i32 s0, s24, s7
	s_wait_loadcnt 0x0
	s_delay_alu instid0(VALU_DEP_1) | instskip(SKIP_3) | instid1(SALU_CYCLE_1)
	v_cmp_eq_f32_e32 vcc_lo, 0, v4
	v_mad_u32 v6, s0, s22, v1
	v_cmp_eq_f32_e64 s0, 0, v5
	s_and_b32 s0, vcc_lo, s0
	s_and_b32 vcc_lo, exec_lo, s0
	global_load_b64 v[2:3], v6, s[20:21] scale_offset
	s_cbranch_vccnz .LBB46_25
; %bb.24:
	v_mul_f32_e32 v12, v5, v5
	s_delay_alu instid0(VALU_DEP_1) | instskip(NEXT) | instid1(VALU_DEP_1)
	v_fmac_f32_e32 v12, v4, v4
	v_div_scale_f32 v7, null, v12, v12, 1.0
	v_div_scale_f32 v13, vcc_lo, 1.0, v12, 1.0
	s_delay_alu instid0(VALU_DEP_2)
	v_rcp_f32_e32 v11, v7
	v_nop
	v_xor_b32_e32 v7, 0x80000000, v7
	s_delay_alu instid0(TRANS32_DEP_1) | instid1(VALU_DEP_1)
	v_fma_f32 v10, v7, v11, 1.0
	s_delay_alu instid0(VALU_DEP_1) | instskip(NEXT) | instid1(VALU_DEP_1)
	v_fmac_f32_e32 v11, v10, v11
	v_mul_f32_e32 v14, v13, v11
	s_delay_alu instid0(VALU_DEP_1) | instskip(NEXT) | instid1(VALU_DEP_1)
	v_fma_f32 v10, v7, v14, v13
	v_dual_fmac_f32 v14, v10, v11 :: v_dual_mov_b32 v10, v5
	s_delay_alu instid0(VALU_DEP_1) | instskip(SKIP_1) | instid1(VALU_DEP_2)
	v_fmac_f32_e32 v13, v7, v14
	v_ashrrev_i32_e32 v7, 31, v6
	v_div_fmas_f32 v5, v13, v11, v14
	s_wait_loadcnt 0x0
	v_pk_mul_f32 v[10:11], v[10:11], v[2:3] op_sel:[0,1] op_sel_hi:[0,0] neg_hi:[0,1]
	s_delay_alu instid0(VALU_DEP_2) | instskip(NEXT) | instid1(VALU_DEP_2)
	v_div_fixup_f32 v12, v5, v12, 1.0
	v_pk_fma_f32 v[2:3], v[2:3], v[4:5], v[10:11] op_sel_hi:[1,0,1]
	v_lshl_add_u64 v[4:5], v[6:7], 3, s[20:21]
	s_delay_alu instid0(VALU_DEP_2)
	v_pk_mul_f32 v[2:3], v[12:13], v[2:3] op_sel_hi:[0,1]
	global_store_b64 v[4:5], v[2:3], off
	s_mov_b32 s0, exec_lo
	s_wait_xcnt 0x0
	v_cmpx_gt_i32_e64 s24, v8
	s_cbranch_execnz .LBB46_26
	s_branch .LBB46_32
.LBB46_25:
	s_mov_b32 s11, -1
	s_mov_b32 s0, exec_lo
	s_wait_xcnt 0x0
	v_cmpx_gt_i32_e64 s24, v8
	s_cbranch_execz .LBB46_32
.LBB46_26:
	s_wait_loadcnt 0x0
	v_xor_b32_e32 v4, 0x80000000, v3
	v_dual_mov_b32 v5, v2 :: v_dual_mov_b32 v6, v9
	v_mov_b32_e32 v7, v8
	s_mov_b32 s25, 0
	s_branch .LBB46_28
.LBB46_27:                              ;   in Loop: Header=BB46_28 Depth=1
	global_load_b64 v[12:13], v10, s[16:17] scale_offset
	global_load_b64 v[14:15], v6, s[20:21] scale_offset
	v_add_nc_u32_e32 v7, 64, v7
	s_wait_loadcnt 0x1
	s_wait_xcnt 0x1
	v_pk_mul_f32 v[10:11], v[12:13], v[4:5] op_sel:[1,0]
	s_delay_alu instid0(VALU_DEP_1) | instskip(SKIP_1) | instid1(VALU_DEP_1)
	v_pk_fma_f32 v[10:11], v[2:3], v[12:13], v[10:11] op_sel_hi:[1,0,1]
	s_wait_loadcnt 0x0
	v_pk_add_f32 v[10:11], v[14:15], v[10:11] neg_lo:[0,1] neg_hi:[0,1]
	global_store_b64 v6, v[10:11], s[20:21] scale_offset
	s_wait_xcnt 0x0
	v_add_nc_u32_e32 v6, s14, v6
	v_cmp_le_i32_e32 vcc_lo, s24, v7
	s_or_b32 s25, vcc_lo, s25
	s_delay_alu instid0(SALU_CYCLE_1)
	s_and_not1_b32 exec_lo, exec_lo, s25
	s_cbranch_execz .LBB46_32
.LBB46_28:                              ; =>This Inner Loop Header: Depth=1
	s_and_b32 vcc_lo, exec_lo, s10
	s_cbranch_vccz .LBB46_30
; %bb.29:                               ;   in Loop: Header=BB46_28 Depth=1
	v_add_nc_u32_e32 v10, s19, v7
	s_cbranch_execnz .LBB46_27
	s_branch .LBB46_31
.LBB46_30:                              ;   in Loop: Header=BB46_28 Depth=1
                                        ; implicit-def: $vgpr10
.LBB46_31:                              ;   in Loop: Header=BB46_28 Depth=1
	v_add_nc_u32_e32 v10, s13, v7
	s_delay_alu instid0(VALU_DEP_1)
	v_mad_u32 v10, v10, s18, s24
	s_branch .LBB46_27
.LBB46_32:
	s_or_b32 exec_lo, exec_lo, s0
; %bb.33:
	s_sub_co_i32 s19, s19, s18
	s_cmp_lt_i32 s23, 2
	s_cbranch_scc1 .LBB46_35
; %bb.34:
	s_mov_b32 s23, s24
	s_and_not1_b32 vcc_lo, exec_lo, s9
	s_add_co_i32 s24, s23, -1
	s_cbranch_vccnz .LBB46_21
	s_branch .LBB46_22
.LBB46_35:
	s_and_b32 s0, s11, exec_lo
.LBB46_36:
	s_or_b32 exec_lo, exec_lo, s8
	v_cmp_eq_u32_e32 vcc_lo, 0, v0
	global_wb scope:SCOPE_DEV
	s_wait_loadcnt 0x0
	s_wait_storecnt 0x0
	global_inv scope:SCOPE_DEV
	s_wait_loadcnt 0x0
	s_barrier_signal -1
	s_barrier_wait -1
	s_and_b32 s1, vcc_lo, s1
	s_delay_alu instid0(SALU_CYCLE_1)
	s_and_saveexec_b32 s7, s1
	s_cbranch_execz .LBB46_40
; %bb.37:
	s_add_co_i32 s1, s6, s15
	s_delay_alu instid0(SALU_CYCLE_1)
	v_dual_mov_b32 v0, 1 :: v_dual_mov_b32 v1, s1
	global_store_b32 v1, v0, s[4:5] scale_offset scope:SCOPE_DEV
	s_wait_xcnt 0x0
	s_and_b32 exec_lo, exec_lo, s0
	s_cbranch_execz .LBB46_40
; %bb.38:
	v_mbcnt_lo_u32_b32 v0, exec_lo, 0
	s_delay_alu instid0(VALU_DEP_1)
	v_cmp_eq_u32_e32 vcc_lo, 0, v0
	s_and_b32 exec_lo, exec_lo, vcc_lo
	s_cbranch_execz .LBB46_40
; %bb.39:
	s_add_co_i32 s0, s6, s12
	s_delay_alu instid0(SALU_CYCLE_1)
	v_dual_mov_b32 v0, 0 :: v_dual_mov_b32 v1, s0
	global_atomic_min_i32 v0, v1, s[2:3] scope:SCOPE_DEV
.LBB46_40:
	s_endpgm
	.section	.rodata,"a",@progbits
	.p2align	6, 0x0
	.amdhsa_kernel _ZN9rocsparseL24bsrsm_upper_large_kernelILj1024ELj16ELb0E21rocsparse_complex_numIfEEEviiPKiS4_PKT2_iPS5_iPiS4_S9_21rocsparse_index_base_20rocsparse_diag_type_20rocsparse_direction_
		.amdhsa_group_segment_fixed_size 0
		.amdhsa_private_segment_fixed_size 0
		.amdhsa_kernarg_size 92
		.amdhsa_user_sgpr_count 2
		.amdhsa_user_sgpr_dispatch_ptr 0
		.amdhsa_user_sgpr_queue_ptr 0
		.amdhsa_user_sgpr_kernarg_segment_ptr 1
		.amdhsa_user_sgpr_dispatch_id 0
		.amdhsa_user_sgpr_kernarg_preload_length 0
		.amdhsa_user_sgpr_kernarg_preload_offset 0
		.amdhsa_user_sgpr_private_segment_size 0
		.amdhsa_wavefront_size32 1
		.amdhsa_uses_dynamic_stack 0
		.amdhsa_enable_private_segment 0
		.amdhsa_system_sgpr_workgroup_id_x 1
		.amdhsa_system_sgpr_workgroup_id_y 0
		.amdhsa_system_sgpr_workgroup_id_z 0
		.amdhsa_system_sgpr_workgroup_info 0
		.amdhsa_system_vgpr_workitem_id 0
		.amdhsa_next_free_vgpr 18
		.amdhsa_next_free_sgpr 36
		.amdhsa_named_barrier_count 0
		.amdhsa_reserve_vcc 1
		.amdhsa_float_round_mode_32 0
		.amdhsa_float_round_mode_16_64 0
		.amdhsa_float_denorm_mode_32 3
		.amdhsa_float_denorm_mode_16_64 3
		.amdhsa_fp16_overflow 0
		.amdhsa_memory_ordered 1
		.amdhsa_forward_progress 1
		.amdhsa_inst_pref_size 14
		.amdhsa_round_robin_scheduling 0
		.amdhsa_exception_fp_ieee_invalid_op 0
		.amdhsa_exception_fp_denorm_src 0
		.amdhsa_exception_fp_ieee_div_zero 0
		.amdhsa_exception_fp_ieee_overflow 0
		.amdhsa_exception_fp_ieee_underflow 0
		.amdhsa_exception_fp_ieee_inexact 0
		.amdhsa_exception_int_div_zero 0
	.end_amdhsa_kernel
	.section	.text._ZN9rocsparseL24bsrsm_upper_large_kernelILj1024ELj16ELb0E21rocsparse_complex_numIfEEEviiPKiS4_PKT2_iPS5_iPiS4_S9_21rocsparse_index_base_20rocsparse_diag_type_20rocsparse_direction_,"axG",@progbits,_ZN9rocsparseL24bsrsm_upper_large_kernelILj1024ELj16ELb0E21rocsparse_complex_numIfEEEviiPKiS4_PKT2_iPS5_iPiS4_S9_21rocsparse_index_base_20rocsparse_diag_type_20rocsparse_direction_,comdat
.Lfunc_end46:
	.size	_ZN9rocsparseL24bsrsm_upper_large_kernelILj1024ELj16ELb0E21rocsparse_complex_numIfEEEviiPKiS4_PKT2_iPS5_iPiS4_S9_21rocsparse_index_base_20rocsparse_diag_type_20rocsparse_direction_, .Lfunc_end46-_ZN9rocsparseL24bsrsm_upper_large_kernelILj1024ELj16ELb0E21rocsparse_complex_numIfEEEviiPKiS4_PKT2_iPS5_iPiS4_S9_21rocsparse_index_base_20rocsparse_diag_type_20rocsparse_direction_
                                        ; -- End function
	.set _ZN9rocsparseL24bsrsm_upper_large_kernelILj1024ELj16ELb0E21rocsparse_complex_numIfEEEviiPKiS4_PKT2_iPS5_iPiS4_S9_21rocsparse_index_base_20rocsparse_diag_type_20rocsparse_direction_.num_vgpr, 18
	.set _ZN9rocsparseL24bsrsm_upper_large_kernelILj1024ELj16ELb0E21rocsparse_complex_numIfEEEviiPKiS4_PKT2_iPS5_iPiS4_S9_21rocsparse_index_base_20rocsparse_diag_type_20rocsparse_direction_.num_agpr, 0
	.set _ZN9rocsparseL24bsrsm_upper_large_kernelILj1024ELj16ELb0E21rocsparse_complex_numIfEEEviiPKiS4_PKT2_iPS5_iPiS4_S9_21rocsparse_index_base_20rocsparse_diag_type_20rocsparse_direction_.numbered_sgpr, 36
	.set _ZN9rocsparseL24bsrsm_upper_large_kernelILj1024ELj16ELb0E21rocsparse_complex_numIfEEEviiPKiS4_PKT2_iPS5_iPiS4_S9_21rocsparse_index_base_20rocsparse_diag_type_20rocsparse_direction_.num_named_barrier, 0
	.set _ZN9rocsparseL24bsrsm_upper_large_kernelILj1024ELj16ELb0E21rocsparse_complex_numIfEEEviiPKiS4_PKT2_iPS5_iPiS4_S9_21rocsparse_index_base_20rocsparse_diag_type_20rocsparse_direction_.private_seg_size, 0
	.set _ZN9rocsparseL24bsrsm_upper_large_kernelILj1024ELj16ELb0E21rocsparse_complex_numIfEEEviiPKiS4_PKT2_iPS5_iPiS4_S9_21rocsparse_index_base_20rocsparse_diag_type_20rocsparse_direction_.uses_vcc, 1
	.set _ZN9rocsparseL24bsrsm_upper_large_kernelILj1024ELj16ELb0E21rocsparse_complex_numIfEEEviiPKiS4_PKT2_iPS5_iPiS4_S9_21rocsparse_index_base_20rocsparse_diag_type_20rocsparse_direction_.uses_flat_scratch, 0
	.set _ZN9rocsparseL24bsrsm_upper_large_kernelILj1024ELj16ELb0E21rocsparse_complex_numIfEEEviiPKiS4_PKT2_iPS5_iPiS4_S9_21rocsparse_index_base_20rocsparse_diag_type_20rocsparse_direction_.has_dyn_sized_stack, 0
	.set _ZN9rocsparseL24bsrsm_upper_large_kernelILj1024ELj16ELb0E21rocsparse_complex_numIfEEEviiPKiS4_PKT2_iPS5_iPiS4_S9_21rocsparse_index_base_20rocsparse_diag_type_20rocsparse_direction_.has_recursion, 0
	.set _ZN9rocsparseL24bsrsm_upper_large_kernelILj1024ELj16ELb0E21rocsparse_complex_numIfEEEviiPKiS4_PKT2_iPS5_iPiS4_S9_21rocsparse_index_base_20rocsparse_diag_type_20rocsparse_direction_.has_indirect_call, 0
	.section	.AMDGPU.csdata,"",@progbits
; Kernel info:
; codeLenInByte = 1752
; TotalNumSgprs: 38
; NumVgprs: 18
; ScratchSize: 0
; MemoryBound: 0
; FloatMode: 240
; IeeeMode: 1
; LDSByteSize: 0 bytes/workgroup (compile time only)
; SGPRBlocks: 0
; VGPRBlocks: 1
; NumSGPRsForWavesPerEU: 38
; NumVGPRsForWavesPerEU: 18
; NamedBarCnt: 0
; Occupancy: 16
; WaveLimiterHint : 1
; COMPUTE_PGM_RSRC2:SCRATCH_EN: 0
; COMPUTE_PGM_RSRC2:USER_SGPR: 2
; COMPUTE_PGM_RSRC2:TRAP_HANDLER: 0
; COMPUTE_PGM_RSRC2:TGID_X_EN: 1
; COMPUTE_PGM_RSRC2:TGID_Y_EN: 0
; COMPUTE_PGM_RSRC2:TGID_Z_EN: 0
; COMPUTE_PGM_RSRC2:TIDIG_COMP_CNT: 0
	.section	.text._ZN9rocsparseL24bsrsm_lower_large_kernelILj1024ELj16ELb0E21rocsparse_complex_numIfEEEviiPKiS4_PKT2_iPS5_iPiS4_S9_21rocsparse_index_base_20rocsparse_diag_type_20rocsparse_direction_,"axG",@progbits,_ZN9rocsparseL24bsrsm_lower_large_kernelILj1024ELj16ELb0E21rocsparse_complex_numIfEEEviiPKiS4_PKT2_iPS5_iPiS4_S9_21rocsparse_index_base_20rocsparse_diag_type_20rocsparse_direction_,comdat
	.globl	_ZN9rocsparseL24bsrsm_lower_large_kernelILj1024ELj16ELb0E21rocsparse_complex_numIfEEEviiPKiS4_PKT2_iPS5_iPiS4_S9_21rocsparse_index_base_20rocsparse_diag_type_20rocsparse_direction_ ; -- Begin function _ZN9rocsparseL24bsrsm_lower_large_kernelILj1024ELj16ELb0E21rocsparse_complex_numIfEEEviiPKiS4_PKT2_iPS5_iPiS4_S9_21rocsparse_index_base_20rocsparse_diag_type_20rocsparse_direction_
	.p2align	8
	.type	_ZN9rocsparseL24bsrsm_lower_large_kernelILj1024ELj16ELb0E21rocsparse_complex_numIfEEEviiPKiS4_PKT2_iPS5_iPiS4_S9_21rocsparse_index_base_20rocsparse_diag_type_20rocsparse_direction_,@function
_ZN9rocsparseL24bsrsm_lower_large_kernelILj1024ELj16ELb0E21rocsparse_complex_numIfEEEviiPKiS4_PKT2_iPS5_iPiS4_S9_21rocsparse_index_base_20rocsparse_diag_type_20rocsparse_direction_: ; @_ZN9rocsparseL24bsrsm_lower_large_kernelILj1024ELj16ELb0E21rocsparse_complex_numIfEEEviiPKiS4_PKT2_iPS5_iPiS4_S9_21rocsparse_index_base_20rocsparse_diag_type_20rocsparse_direction_
; %bb.0:
	s_clause 0x1
	s_load_b64 s[24:25], s[0:1], 0x0
	s_load_b128 s[8:11], s[0:1], 0x8
	s_bfe_u32 s4, ttmp6, 0x4000c
	s_and_b32 s3, ttmp6, 15
	s_add_co_i32 s4, s4, 1
	s_getreg_b32 s5, hwreg(HW_REG_IB_STS2, 6, 4)
	s_mul_i32 s4, ttmp9, s4
	v_dual_lshrrev_b32 v4, 6, v0 :: v_dual_bitop2_b32 v5, 63, v0 bitop3:0x40
	s_add_co_i32 s3, s3, s4
	s_wait_kmcnt 0x0
	s_cvt_f32_u32 s2, s24
	s_sub_co_i32 s6, 0, s24
	s_delay_alu instid0(SALU_CYCLE_2) | instskip(SKIP_1) | instid1(TRANS32_DEP_1)
	v_rcp_iflag_f32_e32 v1, s2
	v_nop
	v_readfirstlane_b32 s2, v1
	s_mul_f32 s2, s2, 0x4f7ffffe
	s_delay_alu instid0(SALU_CYCLE_3) | instskip(NEXT) | instid1(SALU_CYCLE_3)
	s_cvt_u32_f32 s2, s2
	s_mul_i32 s6, s6, s2
	s_delay_alu instid0(SALU_CYCLE_1) | instskip(NEXT) | instid1(SALU_CYCLE_1)
	s_mul_hi_u32 s6, s2, s6
	s_add_co_i32 s2, s2, s6
	s_cmp_eq_u32 s5, 0
	s_load_b128 s[4:7], s[0:1], 0x38
	s_cselect_b32 s3, ttmp9, s3
	s_delay_alu instid0(SALU_CYCLE_1) | instskip(NEXT) | instid1(SALU_CYCLE_1)
	s_mul_hi_u32 s2, s3, s2
	s_mul_i32 s12, s2, s24
	s_add_co_i32 s13, s2, 1
	s_sub_co_i32 s12, s3, s12
	s_delay_alu instid0(SALU_CYCLE_1)
	s_sub_co_i32 s14, s12, s24
	s_cmp_ge_u32 s12, s24
	s_cselect_b32 s2, s13, s2
	s_cselect_b32 s12, s14, s12
	s_add_co_i32 s13, s2, 1
	s_cmp_ge_u32 s12, s24
	s_cselect_b32 s19, s13, s2
	s_delay_alu instid0(SALU_CYCLE_1) | instskip(SKIP_4) | instid1(SALU_CYCLE_1)
	s_mul_i32 s15, s19, s24
	s_lshl_b32 s19, s19, 4
	s_sub_co_i32 s2, s3, s15
	v_or_b32_e32 v1, s19, v4
	s_ashr_i32 s3, s2, 31
	s_lshl_b64 s[12:13], s[2:3], 2
	s_load_b64 s[2:3], s[0:1], 0x48
	s_wait_kmcnt 0x0
	s_add_nc_u64 s[6:7], s[6:7], s[12:13]
	v_cmp_gt_i32_e32 vcc_lo, s25, v1
	s_load_b32 s6, s[6:7], 0x0
	s_wait_kmcnt 0x0
	s_ashr_i32 s7, s6, 31
	s_delay_alu instid0(SALU_CYCLE_1) | instskip(NEXT) | instid1(SALU_CYCLE_1)
	s_lshl_b64 s[12:13], s[6:7], 2
	s_add_nc_u64 s[26:27], s[8:9], s[12:13]
	s_load_b96 s[12:14], s[0:1], 0x50
	s_load_b64 s[8:9], s[26:27], 0x0
	s_clause 0x1
	s_load_b96 s[16:18], s[0:1], 0x18
	s_load_b96 s[20:22], s[0:1], 0x28
	s_wait_xcnt 0x0
	v_cmp_eq_u32_e64 s0, 0, v0
	s_wait_kmcnt 0x0
	s_sub_co_i32 s23, s8, s12
	s_cmp_ge_i32 s8, s9
	s_mul_i32 s7, s6, s18
	s_mul_i32 s26, s18, s18
	s_cbranch_scc1 .LBB47_18
; %bb.1:
	v_mad_u32 v2, s18, s23, v5
	v_cmp_gt_i32_e64 s1, s18, v5
	s_sub_co_i32 s27, s9, s12
	v_dual_mov_b32 v8, 0 :: v_dual_add_nc_u32 v7, s19, v4
	s_cmp_lg_u32 s14, 0
	s_mul_i32 s29, s22, s18
	s_cselect_b32 s28, -1, 0
	s_and_b32 s1, vcc_lo, s1
	s_lshl_b32 s30, s18, 6
	v_mul_lo_u32 v6, s18, v2
	s_branch .LBB47_3
.LBB47_2:                               ;   in Loop: Header=BB47_3 Depth=1
                                        ; implicit-def: $vgpr6
	s_and_b32 vcc_lo, exec_lo, s8
	s_cbranch_vccnz .LBB47_19
.LBB47_3:                               ; =>This Loop Header: Depth=1
                                        ;     Child Loop BB47_7 Depth 2
                                        ;     Child Loop BB47_11 Depth 2
                                        ;       Child Loop BB47_13 Depth 3
	s_wait_xcnt 0x0
	v_mov_b32_e32 v2, s23
	global_load_b32 v2, v2, s[10:11] scale_offset
	s_wait_loadcnt 0x0
	v_readfirstlane_b32 s8, v2
	s_sub_co_i32 s31, s8, s12
	s_mov_b32 s8, -1
	s_cmp_ge_i32 s31, s6
	s_cbranch_scc1 .LBB47_2
; %bb.4:                                ;   in Loop: Header=BB47_3 Depth=1
	s_wait_xcnt 0x0
	s_and_saveexec_b32 s33, s0
	s_cbranch_execz .LBB47_8
; %bb.5:                                ;   in Loop: Header=BB47_3 Depth=1
	s_add_co_i32 s8, s31, s15
	s_delay_alu instid0(SALU_CYCLE_1)
	v_mov_b32_e32 v2, s8
	global_load_b32 v2, v2, s[4:5] scale_offset scope:SCOPE_DEV
	s_wait_loadcnt 0x0
	v_cmp_ne_u32_e32 vcc_lo, 0, v2
	s_cbranch_vccnz .LBB47_8
; %bb.6:                                ;   in Loop: Header=BB47_3 Depth=1
	s_ashr_i32 s9, s8, 31
	s_delay_alu instid0(SALU_CYCLE_1) | instskip(NEXT) | instid1(SALU_CYCLE_1)
	s_lshl_b64 s[8:9], s[8:9], 2
	s_add_nc_u64 s[8:9], s[4:5], s[8:9]
.LBB47_7:                               ;   Parent Loop BB47_3 Depth=1
                                        ; =>  This Inner Loop Header: Depth=2
	global_load_b32 v2, v8, s[8:9] scope:SCOPE_DEV
	s_wait_loadcnt 0x0
	v_cmp_eq_u32_e32 vcc_lo, 0, v2
	s_cbranch_vccnz .LBB47_7
.LBB47_8:                               ;   in Loop: Header=BB47_3 Depth=1
	s_wait_xcnt 0x0
	s_or_b32 exec_lo, exec_lo, s33
	global_wb scope:SCOPE_DEV
	s_wait_storecnt 0x0
	global_inv scope:SCOPE_DEV
	s_wait_loadcnt 0x0
	s_barrier_signal -1
	s_barrier_wait -1
	s_and_saveexec_b32 s8, s1
	s_cbranch_execz .LBB47_17
; %bb.9:                                ;   in Loop: Header=BB47_3 Depth=1
	v_mad_u32 v9, s29, s31, v7
	v_dual_mov_b32 v10, v6 :: v_dual_mov_b32 v11, v5
	s_mul_i32 s9, s23, s18
	s_mov_b32 s33, 0
	s_branch .LBB47_11
.LBB47_10:                              ;   in Loop: Header=BB47_11 Depth=2
	v_dual_add_nc_u32 v12, s7, v11 :: v_dual_add_nc_u32 v11, 64, v11
	v_add_nc_u32_e32 v10, s30, v10
	s_delay_alu instid0(VALU_DEP_2) | instskip(NEXT) | instid1(VALU_DEP_3)
	v_mad_u32 v14, v12, s22, v1
	v_cmp_le_i32_e32 vcc_lo, s18, v11
	s_or_b32 s33, vcc_lo, s33
	global_load_b64 v[12:13], v14, s[20:21] scale_offset
	s_wait_loadcnt 0x0
	v_pk_add_f32 v[2:3], v[12:13], v[2:3] neg_lo:[0,1] neg_hi:[0,1]
	global_store_b64 v14, v[2:3], s[20:21] scale_offset
	s_wait_xcnt 0x0
	s_and_not1_b32 exec_lo, exec_lo, s33
	s_cbranch_execz .LBB47_17
.LBB47_11:                              ;   Parent Loop BB47_3 Depth=1
                                        ; =>  This Loop Header: Depth=2
                                        ;       Child Loop BB47_13 Depth 3
	s_delay_alu instid0(VALU_DEP_2) | instskip(SKIP_1) | instid1(VALU_DEP_1)
	v_dual_mov_b32 v2, 0 :: v_dual_mov_b32 v12, v9
	s_mov_b32 s34, 0
	v_mov_b32_e32 v3, v2
	s_branch .LBB47_13
.LBB47_12:                              ;   in Loop: Header=BB47_13 Depth=3
	global_load_b64 v[14:15], v12, s[20:21] scale_offset
	global_load_b64 v[16:17], v13, s[16:17] scale_offset
	s_wait_xcnt 0x1
	v_add_nc_u32_e32 v12, s22, v12
	s_add_co_i32 s34, s34, 1
	s_delay_alu instid0(SALU_CYCLE_1) | instskip(SKIP_2) | instid1(VALU_DEP_1)
	s_cmp_eq_u32 s18, s34
	s_wait_loadcnt 0x0
	v_pk_fma_f32 v[2:3], v[16:17], v[14:15], v[2:3] op_sel_hi:[1,0,1]
	v_pk_fma_f32 v[2:3], v[16:17], v[14:15], v[2:3] op_sel:[1,1,0] op_sel_hi:[0,1,1] neg_lo:[1,0,0]
	s_cbranch_scc1 .LBB47_10
.LBB47_13:                              ;   Parent Loop BB47_3 Depth=1
                                        ;     Parent Loop BB47_11 Depth=2
                                        ; =>    This Inner Loop Header: Depth=3
	s_and_b32 vcc_lo, exec_lo, s28
	s_cbranch_vccz .LBB47_15
; %bb.14:                               ;   in Loop: Header=BB47_13 Depth=3
	s_add_co_i32 s35, s34, s9
	s_wait_xcnt 0x0
	v_mad_u32 v13, s35, s18, v11
	s_cbranch_execnz .LBB47_12
	s_branch .LBB47_16
.LBB47_15:                              ;   in Loop: Header=BB47_13 Depth=3
                                        ; implicit-def: $vgpr13
.LBB47_16:                              ;   in Loop: Header=BB47_13 Depth=3
	s_wait_xcnt 0x0
	v_add_nc_u32_e32 v13, s34, v10
	s_branch .LBB47_12
.LBB47_17:                              ;   in Loop: Header=BB47_3 Depth=1
	s_or_b32 exec_lo, exec_lo, s8
	s_add_co_i32 s23, s23, 1
	v_add_nc_u32_e32 v6, s26, v6
	s_cmp_ge_i32 s23, s27
	s_cselect_b32 s8, -1, 0
	s_delay_alu instid0(SALU_CYCLE_1)
	s_and_b32 vcc_lo, exec_lo, s8
	s_cbranch_vccz .LBB47_3
	s_branch .LBB47_19
.LBB47_18:
	s_mov_b32 s31, s24
.LBB47_19:
	s_cmp_lt_i32 s6, s24
	v_cmp_gt_i32_e32 vcc_lo, s25, v1
	s_cselect_b32 s1, -1, 0
	s_cmp_eq_u32 s6, s31
	s_cselect_b32 s0, -1, 0
	s_delay_alu instid0(SALU_CYCLE_1) | instskip(NEXT) | instid1(SALU_CYCLE_1)
	s_and_b32 s0, s1, s0
	s_and_b32 s8, s0, vcc_lo
	s_cmp_gt_i32 s18, 0
	s_mov_b32 s0, 0
	s_cselect_b32 s9, -1, 0
	s_delay_alu instid0(SALU_CYCLE_1)
	s_and_b32 s9, s8, s9
	s_wait_xcnt 0x0
	s_and_saveexec_b32 s8, s9
	s_cbranch_execz .LBB47_35
; %bb.20:
	v_dual_add_nc_u32 v2, s7, v5 :: v_dual_add_nc_u32 v8, 1, v5
	s_cmp_eq_u32 s13, 0
	s_mov_b32 s9, 0
	s_cselect_b32 s10, -1, 0
	s_delay_alu instid0(VALU_DEP_1)
	v_mad_u32 v2, s22, v2, s22
	s_cmp_lg_u32 s14, 0
	s_mul_i32 s11, s23, s18
	s_cselect_b32 s13, -1, 0
	s_lshl_b32 s14, s22, 6
	s_mov_b32 s24, 0
	s_delay_alu instid0(VALU_DEP_1)
	v_add3_u32 v9, v4, v2, s19
	s_mul_i32 s19, s23, s26
	s_add_co_i32 s23, s18, 1
	s_branch .LBB47_22
.LBB47_21:                              ;   in Loop: Header=BB47_22 Depth=1
	s_or_b32 exec_lo, exec_lo, s0
	v_add_nc_u32_e32 v9, s22, v9
	s_add_co_i32 s9, s9, 1
	s_add_co_i32 s19, s19, s23
	s_cmp_eq_u32 s9, s18
	s_cbranch_scc1 .LBB47_34
.LBB47_22:                              ; =>This Loop Header: Depth=1
                                        ;     Child Loop BB47_30 Depth 2
	s_and_not1_b32 vcc_lo, exec_lo, s10
	s_cbranch_vccz .LBB47_24
; %bb.23:                               ;   in Loop: Header=BB47_22 Depth=1
	v_dual_mov_b32 v4, 1.0 :: v_dual_mov_b32 v5, 0
	s_branch .LBB47_25
.LBB47_24:                              ;   in Loop: Header=BB47_22 Depth=1
	s_add_co_i32 s0, s9, s11
	s_delay_alu instid0(SALU_CYCLE_1) | instskip(NEXT) | instid1(SALU_CYCLE_1)
	s_mul_i32 s0, s0, s18
	s_add_co_i32 s0, s0, s9
	s_wait_loadcnt 0x0
	v_mov_b32_e32 v2, s0
	global_load_b64 v[4:5], v2, s[16:17] scale_offset
.LBB47_25:                              ;   in Loop: Header=BB47_22 Depth=1
	s_add_co_i32 s0, s9, s7
	s_wait_loadcnt 0x0
	s_delay_alu instid0(VALU_DEP_1) | instskip(SKIP_3) | instid1(SALU_CYCLE_1)
	v_cmp_eq_f32_e32 vcc_lo, 0, v4
	v_mad_u32 v6, s0, s22, v1
	v_cmp_eq_f32_e64 s0, 0, v5
	s_and_b32 s0, vcc_lo, s0
	s_and_b32 vcc_lo, exec_lo, s0
	global_load_b64 v[2:3], v6, s[20:21] scale_offset
	s_cbranch_vccnz .LBB47_27
; %bb.26:                               ;   in Loop: Header=BB47_22 Depth=1
	v_mul_f32_e32 v12, v5, v5
	s_delay_alu instid0(VALU_DEP_1) | instskip(NEXT) | instid1(VALU_DEP_1)
	v_fmac_f32_e32 v12, v4, v4
	v_div_scale_f32 v7, null, v12, v12, 1.0
	v_div_scale_f32 v13, vcc_lo, 1.0, v12, 1.0
	s_delay_alu instid0(VALU_DEP_2)
	v_rcp_f32_e32 v11, v7
	v_nop
	v_xor_b32_e32 v7, 0x80000000, v7
	s_delay_alu instid0(TRANS32_DEP_1) | instid1(VALU_DEP_1)
	v_fma_f32 v10, v7, v11, 1.0
	s_delay_alu instid0(VALU_DEP_1) | instskip(NEXT) | instid1(VALU_DEP_1)
	v_fmac_f32_e32 v11, v10, v11
	v_mul_f32_e32 v14, v13, v11
	s_delay_alu instid0(VALU_DEP_1) | instskip(NEXT) | instid1(VALU_DEP_1)
	v_fma_f32 v10, v7, v14, v13
	v_dual_fmac_f32 v14, v10, v11 :: v_dual_mov_b32 v10, v5
	s_delay_alu instid0(VALU_DEP_1) | instskip(SKIP_1) | instid1(VALU_DEP_2)
	v_fmac_f32_e32 v13, v7, v14
	v_ashrrev_i32_e32 v7, 31, v6
	v_div_fmas_f32 v5, v13, v11, v14
	s_wait_loadcnt 0x0
	v_pk_mul_f32 v[10:11], v[10:11], v[2:3] op_sel:[0,1] op_sel_hi:[0,0] neg_hi:[0,1]
	s_delay_alu instid0(VALU_DEP_2) | instskip(NEXT) | instid1(VALU_DEP_2)
	v_div_fixup_f32 v12, v5, v12, 1.0
	v_pk_fma_f32 v[2:3], v[2:3], v[4:5], v[10:11] op_sel_hi:[1,0,1]
	v_lshl_add_u64 v[4:5], v[6:7], 3, s[20:21]
	s_delay_alu instid0(VALU_DEP_2)
	v_pk_mul_f32 v[2:3], v[12:13], v[2:3] op_sel_hi:[0,1]
	global_store_b64 v[4:5], v[2:3], off
	s_wait_xcnt 0x1
	v_add_nc_u32_e32 v6, s9, v8
	s_mov_b32 s0, exec_lo
	s_wait_xcnt 0x0
	s_delay_alu instid0(VALU_DEP_1)
	v_cmpx_gt_i32_e64 s18, v6
	s_cbranch_execz .LBB47_21
	s_branch .LBB47_28
.LBB47_27:                              ;   in Loop: Header=BB47_22 Depth=1
	s_mov_b32 s24, -1
	s_wait_xcnt 0x0
	v_add_nc_u32_e32 v6, s9, v8
	s_mov_b32 s0, exec_lo
	s_delay_alu instid0(VALU_DEP_1)
	v_cmpx_gt_i32_e64 s18, v6
	s_cbranch_execz .LBB47_21
.LBB47_28:                              ;   in Loop: Header=BB47_22 Depth=1
	s_wait_loadcnt 0x0
	v_xor_b32_e32 v4, 0x80000000, v3
	v_dual_mov_b32 v5, v2 :: v_dual_mov_b32 v7, v9
	v_mov_b32_e32 v10, v8
	s_mov_b32 s25, 0
	s_branch .LBB47_30
.LBB47_29:                              ;   in Loop: Header=BB47_30 Depth=2
	global_load_b64 v[12:13], v11, s[16:17] scale_offset
	global_load_b64 v[14:15], v7, s[20:21] scale_offset
	v_add_nc_u32_e32 v10, 64, v10
	v_add_nc_u32_e32 v6, 64, v6
	s_wait_loadcnt 0x1
	v_pk_mul_f32 v[16:17], v[12:13], v[4:5] op_sel:[1,0]
	s_delay_alu instid0(VALU_DEP_1) | instskip(SKIP_1) | instid1(VALU_DEP_1)
	v_pk_fma_f32 v[12:13], v[2:3], v[12:13], v[16:17] op_sel_hi:[1,0,1]
	s_wait_loadcnt 0x0
	v_pk_add_f32 v[12:13], v[14:15], v[12:13] neg_lo:[0,1] neg_hi:[0,1]
	global_store_b64 v7, v[12:13], s[20:21] scale_offset
	s_wait_xcnt 0x0
	v_dual_add_nc_u32 v7, s14, v7 :: v_dual_add_nc_u32 v11, s9, v10
	s_delay_alu instid0(VALU_DEP_1) | instskip(SKIP_1) | instid1(SALU_CYCLE_1)
	v_cmp_le_i32_e32 vcc_lo, s18, v11
	s_or_b32 s25, vcc_lo, s25
	s_and_not1_b32 exec_lo, exec_lo, s25
	s_cbranch_execz .LBB47_21
.LBB47_30:                              ;   Parent Loop BB47_22 Depth=1
                                        ; =>  This Inner Loop Header: Depth=2
	s_and_b32 vcc_lo, exec_lo, s13
	s_cbranch_vccz .LBB47_32
; %bb.31:                               ;   in Loop: Header=BB47_30 Depth=2
	v_add_nc_u32_e32 v11, s19, v10
	s_cbranch_execnz .LBB47_29
	s_branch .LBB47_33
.LBB47_32:                              ;   in Loop: Header=BB47_30 Depth=2
                                        ; implicit-def: $vgpr11
.LBB47_33:                              ;   in Loop: Header=BB47_30 Depth=2
	v_add_nc_u32_e32 v11, s11, v6
	s_delay_alu instid0(VALU_DEP_1)
	v_mad_u32 v11, v11, s18, s9
	s_branch .LBB47_29
.LBB47_34:
	s_and_b32 s0, s24, exec_lo
.LBB47_35:
	s_or_b32 exec_lo, exec_lo, s8
	v_cmp_eq_u32_e32 vcc_lo, 0, v0
	global_wb scope:SCOPE_DEV
	s_wait_loadcnt 0x0
	s_wait_storecnt 0x0
	global_inv scope:SCOPE_DEV
	s_wait_loadcnt 0x0
	s_barrier_signal -1
	s_barrier_wait -1
	s_and_b32 s1, vcc_lo, s1
	s_delay_alu instid0(SALU_CYCLE_1)
	s_and_saveexec_b32 s7, s1
	s_cbranch_execz .LBB47_39
; %bb.36:
	s_add_co_i32 s1, s6, s15
	s_delay_alu instid0(SALU_CYCLE_1)
	v_dual_mov_b32 v0, 1 :: v_dual_mov_b32 v1, s1
	global_store_b32 v1, v0, s[4:5] scale_offset scope:SCOPE_DEV
	s_wait_xcnt 0x0
	s_and_b32 exec_lo, exec_lo, s0
	s_cbranch_execz .LBB47_39
; %bb.37:
	v_mbcnt_lo_u32_b32 v0, exec_lo, 0
	s_delay_alu instid0(VALU_DEP_1)
	v_cmp_eq_u32_e32 vcc_lo, 0, v0
	s_and_b32 exec_lo, exec_lo, vcc_lo
	s_cbranch_execz .LBB47_39
; %bb.38:
	s_add_co_i32 s0, s6, s12
	s_delay_alu instid0(SALU_CYCLE_1)
	v_dual_mov_b32 v0, 0 :: v_dual_mov_b32 v1, s0
	global_atomic_min_i32 v0, v1, s[2:3] scope:SCOPE_DEV
.LBB47_39:
	s_endpgm
	.section	.rodata,"a",@progbits
	.p2align	6, 0x0
	.amdhsa_kernel _ZN9rocsparseL24bsrsm_lower_large_kernelILj1024ELj16ELb0E21rocsparse_complex_numIfEEEviiPKiS4_PKT2_iPS5_iPiS4_S9_21rocsparse_index_base_20rocsparse_diag_type_20rocsparse_direction_
		.amdhsa_group_segment_fixed_size 0
		.amdhsa_private_segment_fixed_size 0
		.amdhsa_kernarg_size 92
		.amdhsa_user_sgpr_count 2
		.amdhsa_user_sgpr_dispatch_ptr 0
		.amdhsa_user_sgpr_queue_ptr 0
		.amdhsa_user_sgpr_kernarg_segment_ptr 1
		.amdhsa_user_sgpr_dispatch_id 0
		.amdhsa_user_sgpr_kernarg_preload_length 0
		.amdhsa_user_sgpr_kernarg_preload_offset 0
		.amdhsa_user_sgpr_private_segment_size 0
		.amdhsa_wavefront_size32 1
		.amdhsa_uses_dynamic_stack 0
		.amdhsa_enable_private_segment 0
		.amdhsa_system_sgpr_workgroup_id_x 1
		.amdhsa_system_sgpr_workgroup_id_y 0
		.amdhsa_system_sgpr_workgroup_id_z 0
		.amdhsa_system_sgpr_workgroup_info 0
		.amdhsa_system_vgpr_workitem_id 0
		.amdhsa_next_free_vgpr 18
		.amdhsa_next_free_sgpr 36
		.amdhsa_named_barrier_count 0
		.amdhsa_reserve_vcc 1
		.amdhsa_float_round_mode_32 0
		.amdhsa_float_round_mode_16_64 0
		.amdhsa_float_denorm_mode_32 3
		.amdhsa_float_denorm_mode_16_64 3
		.amdhsa_fp16_overflow 0
		.amdhsa_memory_ordered 1
		.amdhsa_forward_progress 1
		.amdhsa_inst_pref_size 14
		.amdhsa_round_robin_scheduling 0
		.amdhsa_exception_fp_ieee_invalid_op 0
		.amdhsa_exception_fp_denorm_src 0
		.amdhsa_exception_fp_ieee_div_zero 0
		.amdhsa_exception_fp_ieee_overflow 0
		.amdhsa_exception_fp_ieee_underflow 0
		.amdhsa_exception_fp_ieee_inexact 0
		.amdhsa_exception_int_div_zero 0
	.end_amdhsa_kernel
	.section	.text._ZN9rocsparseL24bsrsm_lower_large_kernelILj1024ELj16ELb0E21rocsparse_complex_numIfEEEviiPKiS4_PKT2_iPS5_iPiS4_S9_21rocsparse_index_base_20rocsparse_diag_type_20rocsparse_direction_,"axG",@progbits,_ZN9rocsparseL24bsrsm_lower_large_kernelILj1024ELj16ELb0E21rocsparse_complex_numIfEEEviiPKiS4_PKT2_iPS5_iPiS4_S9_21rocsparse_index_base_20rocsparse_diag_type_20rocsparse_direction_,comdat
.Lfunc_end47:
	.size	_ZN9rocsparseL24bsrsm_lower_large_kernelILj1024ELj16ELb0E21rocsparse_complex_numIfEEEviiPKiS4_PKT2_iPS5_iPiS4_S9_21rocsparse_index_base_20rocsparse_diag_type_20rocsparse_direction_, .Lfunc_end47-_ZN9rocsparseL24bsrsm_lower_large_kernelILj1024ELj16ELb0E21rocsparse_complex_numIfEEEviiPKiS4_PKT2_iPS5_iPiS4_S9_21rocsparse_index_base_20rocsparse_diag_type_20rocsparse_direction_
                                        ; -- End function
	.set _ZN9rocsparseL24bsrsm_lower_large_kernelILj1024ELj16ELb0E21rocsparse_complex_numIfEEEviiPKiS4_PKT2_iPS5_iPiS4_S9_21rocsparse_index_base_20rocsparse_diag_type_20rocsparse_direction_.num_vgpr, 18
	.set _ZN9rocsparseL24bsrsm_lower_large_kernelILj1024ELj16ELb0E21rocsparse_complex_numIfEEEviiPKiS4_PKT2_iPS5_iPiS4_S9_21rocsparse_index_base_20rocsparse_diag_type_20rocsparse_direction_.num_agpr, 0
	.set _ZN9rocsparseL24bsrsm_lower_large_kernelILj1024ELj16ELb0E21rocsparse_complex_numIfEEEviiPKiS4_PKT2_iPS5_iPiS4_S9_21rocsparse_index_base_20rocsparse_diag_type_20rocsparse_direction_.numbered_sgpr, 36
	.set _ZN9rocsparseL24bsrsm_lower_large_kernelILj1024ELj16ELb0E21rocsparse_complex_numIfEEEviiPKiS4_PKT2_iPS5_iPiS4_S9_21rocsparse_index_base_20rocsparse_diag_type_20rocsparse_direction_.num_named_barrier, 0
	.set _ZN9rocsparseL24bsrsm_lower_large_kernelILj1024ELj16ELb0E21rocsparse_complex_numIfEEEviiPKiS4_PKT2_iPS5_iPiS4_S9_21rocsparse_index_base_20rocsparse_diag_type_20rocsparse_direction_.private_seg_size, 0
	.set _ZN9rocsparseL24bsrsm_lower_large_kernelILj1024ELj16ELb0E21rocsparse_complex_numIfEEEviiPKiS4_PKT2_iPS5_iPiS4_S9_21rocsparse_index_base_20rocsparse_diag_type_20rocsparse_direction_.uses_vcc, 1
	.set _ZN9rocsparseL24bsrsm_lower_large_kernelILj1024ELj16ELb0E21rocsparse_complex_numIfEEEviiPKiS4_PKT2_iPS5_iPiS4_S9_21rocsparse_index_base_20rocsparse_diag_type_20rocsparse_direction_.uses_flat_scratch, 0
	.set _ZN9rocsparseL24bsrsm_lower_large_kernelILj1024ELj16ELb0E21rocsparse_complex_numIfEEEviiPKiS4_PKT2_iPS5_iPiS4_S9_21rocsparse_index_base_20rocsparse_diag_type_20rocsparse_direction_.has_dyn_sized_stack, 0
	.set _ZN9rocsparseL24bsrsm_lower_large_kernelILj1024ELj16ELb0E21rocsparse_complex_numIfEEEviiPKiS4_PKT2_iPS5_iPiS4_S9_21rocsparse_index_base_20rocsparse_diag_type_20rocsparse_direction_.has_recursion, 0
	.set _ZN9rocsparseL24bsrsm_lower_large_kernelILj1024ELj16ELb0E21rocsparse_complex_numIfEEEviiPKiS4_PKT2_iPS5_iPiS4_S9_21rocsparse_index_base_20rocsparse_diag_type_20rocsparse_direction_.has_indirect_call, 0
	.section	.AMDGPU.csdata,"",@progbits
; Kernel info:
; codeLenInByte = 1772
; TotalNumSgprs: 38
; NumVgprs: 18
; ScratchSize: 0
; MemoryBound: 0
; FloatMode: 240
; IeeeMode: 1
; LDSByteSize: 0 bytes/workgroup (compile time only)
; SGPRBlocks: 0
; VGPRBlocks: 1
; NumSGPRsForWavesPerEU: 38
; NumVGPRsForWavesPerEU: 18
; NamedBarCnt: 0
; Occupancy: 16
; WaveLimiterHint : 1
; COMPUTE_PGM_RSRC2:SCRATCH_EN: 0
; COMPUTE_PGM_RSRC2:USER_SGPR: 2
; COMPUTE_PGM_RSRC2:TRAP_HANDLER: 0
; COMPUTE_PGM_RSRC2:TGID_X_EN: 1
; COMPUTE_PGM_RSRC2:TGID_Y_EN: 0
; COMPUTE_PGM_RSRC2:TGID_Z_EN: 0
; COMPUTE_PGM_RSRC2:TIDIG_COMP_CNT: 0
	.section	.text._ZN9rocsparseL16bsrsm_copy_scaleILj1024E21rocsparse_complex_numIdEEEviiNS_24const_host_device_scalarIT0_EEPKS4_lPS4_lb,"axG",@progbits,_ZN9rocsparseL16bsrsm_copy_scaleILj1024E21rocsparse_complex_numIdEEEviiNS_24const_host_device_scalarIT0_EEPKS4_lPS4_lb,comdat
	.globl	_ZN9rocsparseL16bsrsm_copy_scaleILj1024E21rocsparse_complex_numIdEEEviiNS_24const_host_device_scalarIT0_EEPKS4_lPS4_lb ; -- Begin function _ZN9rocsparseL16bsrsm_copy_scaleILj1024E21rocsparse_complex_numIdEEEviiNS_24const_host_device_scalarIT0_EEPKS4_lPS4_lb
	.p2align	8
	.type	_ZN9rocsparseL16bsrsm_copy_scaleILj1024E21rocsparse_complex_numIdEEEviiNS_24const_host_device_scalarIT0_EEPKS4_lPS4_lb,@function
_ZN9rocsparseL16bsrsm_copy_scaleILj1024E21rocsparse_complex_numIdEEEviiNS_24const_host_device_scalarIT0_EEPKS4_lPS4_lb: ; @_ZN9rocsparseL16bsrsm_copy_scaleILj1024E21rocsparse_complex_numIdEEEviiNS_24const_host_device_scalarIT0_EEPKS4_lPS4_lb
; %bb.0:
	s_clause 0x1
	s_load_b32 s2, s[0:1], 0x38
	s_load_b256 s[4:11], s[0:1], 0x8
	v_mbcnt_lo_u32_b32 v1, -1, 0
	s_delay_alu instid0(VALU_DEP_1) | instskip(NEXT) | instid1(VALU_DEP_1)
	v_dual_mov_b32 v2, 0 :: v_dual_lshlrev_b32 v3, 20, v1
	v_add_nc_u64_e32 v[2:3], src_flat_scratch_base_lo, v[2:3]
	s_wait_kmcnt 0x0
	s_bitcmp1_b32 s2, 0
	v_mov_b64_e32 v[4:5], s[4:5]
	s_cselect_b32 vcc_lo, -1, 0
	s_delay_alu instid0(VALU_DEP_2) | instskip(NEXT) | instid1(VALU_DEP_3)
	v_cndmask_b32_e32 v3, s5, v3, vcc_lo
	v_cndmask_b32_e32 v2, s4, v2, vcc_lo
	s_and_b32 vcc_lo, exec_lo, vcc_lo
	scratch_store_b64 off, v[4:5], off
	s_wait_xcnt 0x0
	v_mov_b64_e32 v[4:5], s[6:7]
	flat_load_b64 v[2:3], v[2:3]
	s_cbranch_vccnz .LBB48_2
; %bb.1:
	v_mov_b32_e32 v1, 0
	flat_load_b64 v[4:5], v1, s[4:5] offset:8
.LBB48_2:
	s_wait_xcnt 0x0
	s_clause 0x1
	s_load_b32 s4, s[0:1], 0x4c
	s_load_b64 s[2:3], s[0:1], 0x0
	s_bfe_u32 s5, ttmp6, 0x4000c
	s_and_b32 s6, ttmp6, 15
	s_add_co_i32 s5, s5, 1
	s_getreg_b32 s7, hwreg(HW_REG_IB_STS2, 6, 4)
	s_mul_i32 s5, ttmp9, s5
	s_delay_alu instid0(SALU_CYCLE_1)
	s_add_co_i32 s6, s6, s5
	s_wait_kmcnt 0x0
	s_and_b32 s4, s4, 0xffff
	s_cmp_eq_u32 s7, 0
	s_cselect_b32 s5, ttmp9, s6
	s_cmp_gt_i32 s3, 0
	v_mad_u32 v0, s5, s4, v0
	s_delay_alu instid0(VALU_DEP_1) | instskip(SKIP_1) | instid1(SALU_CYCLE_1)
	v_cmp_gt_i32_e32 vcc_lo, s2, v0
	s_cselect_b32 s2, -1, 0
	s_and_b32 s2, s2, vcc_lo
	s_delay_alu instid0(SALU_CYCLE_1)
	s_and_saveexec_b32 s4, s2
	s_cbranch_execz .LBB48_5
; %bb.3:
	s_load_b128 s[4:7], s[0:1], 0x28
	v_ashrrev_i32_e32 v1, 31, v0
	s_delay_alu instid0(VALU_DEP_1) | instskip(SKIP_2) | instid1(VALU_DEP_2)
	v_mul_u64_e32 v[6:7], s[10:11], v[0:1]
	s_wait_kmcnt 0x0
	v_mul_u64_e32 v[0:1], s[6:7], v[0:1]
	v_lshl_add_u64 v[6:7], v[6:7], 4, s[8:9]
	s_delay_alu instid0(VALU_DEP_2) | instskip(NEXT) | instid1(VALU_DEP_2)
	v_lshl_add_u64 v[8:9], v[0:1], 4, s[4:5]
	v_add_nc_u64_e32 v[0:1], 8, v[6:7]
	s_delay_alu instid0(VALU_DEP_2)
	v_add_nc_u64_e32 v[6:7], 8, v[8:9]
.LBB48_4:                               ; =>This Inner Loop Header: Depth=1
	global_load_b128 v[8:11], v[0:1], off offset:-8
	s_wait_xcnt 0x0
	v_add_nc_u64_e32 v[0:1], 16, v[0:1]
	s_add_co_i32 s3, s3, -1
	s_delay_alu instid0(SALU_CYCLE_1) | instskip(SKIP_3) | instid1(VALU_DEP_2)
	s_cmp_lg_u32 s3, 0
	s_wait_loadcnt_dscnt 0x0
	v_mul_f64_e64 v[12:13], v[10:11], -v[4:5]
	v_mul_f64_e32 v[14:15], v[2:3], v[10:11]
	v_fmac_f64_e32 v[12:13], v[2:3], v[8:9]
	s_delay_alu instid0(VALU_DEP_2)
	v_fmac_f64_e32 v[14:15], v[4:5], v[8:9]
	global_store_b128 v[6:7], v[12:15], off offset:-8
	s_wait_xcnt 0x0
	v_add_nc_u64_e32 v[6:7], 16, v[6:7]
	s_cbranch_scc1 .LBB48_4
.LBB48_5:
	s_endpgm
	.section	.rodata,"a",@progbits
	.p2align	6, 0x0
	.amdhsa_kernel _ZN9rocsparseL16bsrsm_copy_scaleILj1024E21rocsparse_complex_numIdEEEviiNS_24const_host_device_scalarIT0_EEPKS4_lPS4_lb
		.amdhsa_group_segment_fixed_size 0
		.amdhsa_private_segment_fixed_size 16
		.amdhsa_kernarg_size 320
		.amdhsa_user_sgpr_count 2
		.amdhsa_user_sgpr_dispatch_ptr 0
		.amdhsa_user_sgpr_queue_ptr 0
		.amdhsa_user_sgpr_kernarg_segment_ptr 1
		.amdhsa_user_sgpr_dispatch_id 0
		.amdhsa_user_sgpr_kernarg_preload_length 0
		.amdhsa_user_sgpr_kernarg_preload_offset 0
		.amdhsa_user_sgpr_private_segment_size 0
		.amdhsa_wavefront_size32 1
		.amdhsa_uses_dynamic_stack 0
		.amdhsa_enable_private_segment 1
		.amdhsa_system_sgpr_workgroup_id_x 1
		.amdhsa_system_sgpr_workgroup_id_y 0
		.amdhsa_system_sgpr_workgroup_id_z 0
		.amdhsa_system_sgpr_workgroup_info 0
		.amdhsa_system_vgpr_workitem_id 0
		.amdhsa_next_free_vgpr 16
		.amdhsa_next_free_sgpr 12
		.amdhsa_named_barrier_count 0
		.amdhsa_reserve_vcc 1
		.amdhsa_float_round_mode_32 0
		.amdhsa_float_round_mode_16_64 0
		.amdhsa_float_denorm_mode_32 3
		.amdhsa_float_denorm_mode_16_64 3
		.amdhsa_fp16_overflow 0
		.amdhsa_memory_ordered 1
		.amdhsa_forward_progress 1
		.amdhsa_inst_pref_size 4
		.amdhsa_round_robin_scheduling 0
		.amdhsa_exception_fp_ieee_invalid_op 0
		.amdhsa_exception_fp_denorm_src 0
		.amdhsa_exception_fp_ieee_div_zero 0
		.amdhsa_exception_fp_ieee_overflow 0
		.amdhsa_exception_fp_ieee_underflow 0
		.amdhsa_exception_fp_ieee_inexact 0
		.amdhsa_exception_int_div_zero 0
	.end_amdhsa_kernel
	.section	.text._ZN9rocsparseL16bsrsm_copy_scaleILj1024E21rocsparse_complex_numIdEEEviiNS_24const_host_device_scalarIT0_EEPKS4_lPS4_lb,"axG",@progbits,_ZN9rocsparseL16bsrsm_copy_scaleILj1024E21rocsparse_complex_numIdEEEviiNS_24const_host_device_scalarIT0_EEPKS4_lPS4_lb,comdat
.Lfunc_end48:
	.size	_ZN9rocsparseL16bsrsm_copy_scaleILj1024E21rocsparse_complex_numIdEEEviiNS_24const_host_device_scalarIT0_EEPKS4_lPS4_lb, .Lfunc_end48-_ZN9rocsparseL16bsrsm_copy_scaleILj1024E21rocsparse_complex_numIdEEEviiNS_24const_host_device_scalarIT0_EEPKS4_lPS4_lb
                                        ; -- End function
	.set _ZN9rocsparseL16bsrsm_copy_scaleILj1024E21rocsparse_complex_numIdEEEviiNS_24const_host_device_scalarIT0_EEPKS4_lPS4_lb.num_vgpr, 16
	.set _ZN9rocsparseL16bsrsm_copy_scaleILj1024E21rocsparse_complex_numIdEEEviiNS_24const_host_device_scalarIT0_EEPKS4_lPS4_lb.num_agpr, 0
	.set _ZN9rocsparseL16bsrsm_copy_scaleILj1024E21rocsparse_complex_numIdEEEviiNS_24const_host_device_scalarIT0_EEPKS4_lPS4_lb.numbered_sgpr, 12
	.set _ZN9rocsparseL16bsrsm_copy_scaleILj1024E21rocsparse_complex_numIdEEEviiNS_24const_host_device_scalarIT0_EEPKS4_lPS4_lb.num_named_barrier, 0
	.set _ZN9rocsparseL16bsrsm_copy_scaleILj1024E21rocsparse_complex_numIdEEEviiNS_24const_host_device_scalarIT0_EEPKS4_lPS4_lb.private_seg_size, 16
	.set _ZN9rocsparseL16bsrsm_copy_scaleILj1024E21rocsparse_complex_numIdEEEviiNS_24const_host_device_scalarIT0_EEPKS4_lPS4_lb.uses_vcc, 1
	.set _ZN9rocsparseL16bsrsm_copy_scaleILj1024E21rocsparse_complex_numIdEEEviiNS_24const_host_device_scalarIT0_EEPKS4_lPS4_lb.uses_flat_scratch, 0
	.set _ZN9rocsparseL16bsrsm_copy_scaleILj1024E21rocsparse_complex_numIdEEEviiNS_24const_host_device_scalarIT0_EEPKS4_lPS4_lb.has_dyn_sized_stack, 0
	.set _ZN9rocsparseL16bsrsm_copy_scaleILj1024E21rocsparse_complex_numIdEEEviiNS_24const_host_device_scalarIT0_EEPKS4_lPS4_lb.has_recursion, 0
	.set _ZN9rocsparseL16bsrsm_copy_scaleILj1024E21rocsparse_complex_numIdEEEviiNS_24const_host_device_scalarIT0_EEPKS4_lPS4_lb.has_indirect_call, 0
	.section	.AMDGPU.csdata,"",@progbits
; Kernel info:
; codeLenInByte = 392
; TotalNumSgprs: 14
; NumVgprs: 16
; ScratchSize: 16
; MemoryBound: 0
; FloatMode: 240
; IeeeMode: 1
; LDSByteSize: 0 bytes/workgroup (compile time only)
; SGPRBlocks: 0
; VGPRBlocks: 0
; NumSGPRsForWavesPerEU: 14
; NumVGPRsForWavesPerEU: 16
; NamedBarCnt: 0
; Occupancy: 16
; WaveLimiterHint : 0
; COMPUTE_PGM_RSRC2:SCRATCH_EN: 1
; COMPUTE_PGM_RSRC2:USER_SGPR: 2
; COMPUTE_PGM_RSRC2:TRAP_HANDLER: 0
; COMPUTE_PGM_RSRC2:TGID_X_EN: 1
; COMPUTE_PGM_RSRC2:TGID_Y_EN: 0
; COMPUTE_PGM_RSRC2:TGID_Z_EN: 0
; COMPUTE_PGM_RSRC2:TIDIG_COMP_CNT: 0
	.section	.text._ZN9rocsparseL10bsr_gatherILj4ELj64ELj2Ei21rocsparse_complex_numIdEEEv20rocsparse_direction_T2_PKS4_PKT3_PS7_S4_,"axG",@progbits,_ZN9rocsparseL10bsr_gatherILj4ELj64ELj2Ei21rocsparse_complex_numIdEEEv20rocsparse_direction_T2_PKS4_PKT3_PS7_S4_,comdat
	.globl	_ZN9rocsparseL10bsr_gatherILj4ELj64ELj2Ei21rocsparse_complex_numIdEEEv20rocsparse_direction_T2_PKS4_PKT3_PS7_S4_ ; -- Begin function _ZN9rocsparseL10bsr_gatherILj4ELj64ELj2Ei21rocsparse_complex_numIdEEEv20rocsparse_direction_T2_PKS4_PKT3_PS7_S4_
	.p2align	8
	.type	_ZN9rocsparseL10bsr_gatherILj4ELj64ELj2Ei21rocsparse_complex_numIdEEEv20rocsparse_direction_T2_PKS4_PKT3_PS7_S4_,@function
_ZN9rocsparseL10bsr_gatherILj4ELj64ELj2Ei21rocsparse_complex_numIdEEEv20rocsparse_direction_T2_PKS4_PKT3_PS7_S4_: ; @_ZN9rocsparseL10bsr_gatherILj4ELj64ELj2Ei21rocsparse_complex_numIdEEEv20rocsparse_direction_T2_PKS4_PKT3_PS7_S4_
; %bb.0:
	s_load_b64 s[8:9], s[0:1], 0x0
	s_bfe_u32 s2, ttmp6, 0x4000c
	s_and_b32 s3, ttmp6, 15
	s_add_co_i32 s2, s2, 1
	v_bfe_u32 v1, v0, 10, 10
	s_mul_i32 s2, ttmp9, s2
	s_delay_alu instid0(SALU_CYCLE_1) | instskip(SKIP_1) | instid1(SALU_CYCLE_1)
	s_add_co_i32 s3, s3, s2
	s_getreg_b32 s2, hwreg(HW_REG_IB_STS2, 6, 4)
	s_cmp_eq_u32 s2, 0
	s_cselect_b32 s2, ttmp9, s3
	s_delay_alu instid0(SALU_CYCLE_1) | instskip(SKIP_2) | instid1(VALU_DEP_1)
	v_lshl_add_u32 v2, s2, 6, v1
	s_mov_b32 s2, exec_lo
	s_wait_kmcnt 0x0
	v_cmpx_gt_i32_e64 s9, v2
	s_cbranch_execz .LBB49_15
; %bb.1:
	s_load_b32 s9, s[0:1], 0x20
	v_and_b32_e32 v1, 1, v0
	s_wait_kmcnt 0x0
	s_delay_alu instid0(VALU_DEP_1)
	v_cmp_gt_i32_e32 vcc_lo, s9, v1
	s_and_b32 exec_lo, exec_lo, vcc_lo
	s_cbranch_execz .LBB49_15
; %bb.2:
	s_clause 0x1
	s_load_b128 s[4:7], s[0:1], 0x8
	s_load_b64 s[2:3], s[0:1], 0x18
	v_and_b32_e32 v0, 0x3ff, v0
	s_cmp_lg_u32 s8, 0
	s_wait_xcnt 0x0
	s_mov_b32 s1, 0
	s_delay_alu instid0(VALU_DEP_1) | instskip(NEXT) | instid1(VALU_DEP_1)
	v_lshrrev_b32_e32 v0, 1, v0
	v_cmp_gt_u32_e64 s0, s9, v0
	s_wait_kmcnt 0x0
	global_load_b32 v3, v2, s[4:5] scale_offset
	s_wait_xcnt 0x0
	v_mul_lo_u32 v2, s9, v2
	s_cselect_b32 s4, -1, 0
	s_lshl_b32 s5, s9, 1
	s_wait_loadcnt 0x0
	v_mul_lo_u32 v3, v3, s9
	s_delay_alu instid0(VALU_DEP_1) | instskip(NEXT) | instid1(VALU_DEP_1)
	v_dual_add_nc_u32 v4, v2, v1 :: v_dual_add_nc_u32 v5, v3, v1
	v_mul_lo_u32 v4, s9, v4
	s_delay_alu instid0(VALU_DEP_2)
	v_mul_lo_u32 v5, s9, v5
	s_branch .LBB49_4
.LBB49_3:                               ;   in Loop: Header=BB49_4 Depth=1
	s_or_b32 exec_lo, exec_lo, s8
	s_delay_alu instid0(VALU_DEP_2) | instskip(NEXT) | instid1(VALU_DEP_2)
	v_dual_add_nc_u32 v1, 2, v1 :: v_dual_add_nc_u32 v4, s5, v4
	v_add_nc_u32_e32 v5, s5, v5
	s_delay_alu instid0(VALU_DEP_2) | instskip(SKIP_1) | instid1(SALU_CYCLE_1)
	v_cmp_le_i32_e32 vcc_lo, s9, v1
	s_or_b32 s1, vcc_lo, s1
	s_and_not1_b32 exec_lo, exec_lo, s1
	s_cbranch_execz .LBB49_15
.LBB49_4:                               ; =>This Loop Header: Depth=1
                                        ;     Child Loop BB49_7 Depth 2
	s_and_saveexec_b32 s8, s0
	s_cbranch_execz .LBB49_3
; %bb.5:                                ;   in Loop: Header=BB49_4 Depth=1
	v_mov_b32_e32 v6, v0
	s_mov_b32 s10, 0
	s_branch .LBB49_7
.LBB49_6:                               ;   in Loop: Header=BB49_7 Depth=2
	global_load_b128 v[10:13], v7, s[6:7] scale_offset
	v_add_nc_u32_e32 v6, 2, v6
	s_delay_alu instid0(VALU_DEP_1)
	v_cmp_le_i32_e32 vcc_lo, s9, v6
	s_or_b32 s10, vcc_lo, s10
	s_wait_loadcnt 0x0
	global_store_b128 v8, v[10:13], s[2:3] scale_offset
	s_wait_xcnt 0x0
	s_and_not1_b32 exec_lo, exec_lo, s10
	s_cbranch_execz .LBB49_3
.LBB49_7:                               ;   Parent Loop BB49_4 Depth=1
                                        ; =>  This Inner Loop Header: Depth=2
	s_and_b32 vcc_lo, exec_lo, s4
	s_cbranch_vccz .LBB49_12
; %bb.8:                                ;   in Loop: Header=BB49_7 Depth=2
	s_delay_alu instid0(VALU_DEP_2)
	v_add_nc_u32_e32 v7, v5, v6
	s_cbranch_execnz .LBB49_10
.LBB49_9:                               ;   in Loop: Header=BB49_7 Depth=2
	v_add_nc_u32_e32 v7, v6, v3
	s_delay_alu instid0(VALU_DEP_1)
	v_mad_u32 v7, v7, s9, v1
.LBB49_10:                              ;   in Loop: Header=BB49_7 Depth=2
	s_and_b32 vcc_lo, exec_lo, s4
	s_cbranch_vccz .LBB49_13
; %bb.11:                               ;   in Loop: Header=BB49_7 Depth=2
	v_add_nc_u32_e32 v8, v6, v2
	s_delay_alu instid0(VALU_DEP_1)
	v_mad_u32 v8, v8, s9, v1
	s_cbranch_execnz .LBB49_6
	s_branch .LBB49_14
.LBB49_12:                              ;   in Loop: Header=BB49_7 Depth=2
                                        ; implicit-def: $vgpr7
	s_branch .LBB49_9
.LBB49_13:                              ;   in Loop: Header=BB49_7 Depth=2
                                        ; implicit-def: $vgpr8
.LBB49_14:                              ;   in Loop: Header=BB49_7 Depth=2
	v_add_nc_u32_e32 v8, v4, v6
	s_branch .LBB49_6
.LBB49_15:
	s_endpgm
	.section	.rodata,"a",@progbits
	.p2align	6, 0x0
	.amdhsa_kernel _ZN9rocsparseL10bsr_gatherILj4ELj64ELj2Ei21rocsparse_complex_numIdEEEv20rocsparse_direction_T2_PKS4_PKT3_PS7_S4_
		.amdhsa_group_segment_fixed_size 0
		.amdhsa_private_segment_fixed_size 0
		.amdhsa_kernarg_size 36
		.amdhsa_user_sgpr_count 2
		.amdhsa_user_sgpr_dispatch_ptr 0
		.amdhsa_user_sgpr_queue_ptr 0
		.amdhsa_user_sgpr_kernarg_segment_ptr 1
		.amdhsa_user_sgpr_dispatch_id 0
		.amdhsa_user_sgpr_kernarg_preload_length 0
		.amdhsa_user_sgpr_kernarg_preload_offset 0
		.amdhsa_user_sgpr_private_segment_size 0
		.amdhsa_wavefront_size32 1
		.amdhsa_uses_dynamic_stack 0
		.amdhsa_enable_private_segment 0
		.amdhsa_system_sgpr_workgroup_id_x 1
		.amdhsa_system_sgpr_workgroup_id_y 0
		.amdhsa_system_sgpr_workgroup_id_z 0
		.amdhsa_system_sgpr_workgroup_info 0
		.amdhsa_system_vgpr_workitem_id 1
		.amdhsa_next_free_vgpr 14
		.amdhsa_next_free_sgpr 11
		.amdhsa_named_barrier_count 0
		.amdhsa_reserve_vcc 1
		.amdhsa_float_round_mode_32 0
		.amdhsa_float_round_mode_16_64 0
		.amdhsa_float_denorm_mode_32 3
		.amdhsa_float_denorm_mode_16_64 3
		.amdhsa_fp16_overflow 0
		.amdhsa_memory_ordered 1
		.amdhsa_forward_progress 1
		.amdhsa_inst_pref_size 4
		.amdhsa_round_robin_scheduling 0
		.amdhsa_exception_fp_ieee_invalid_op 0
		.amdhsa_exception_fp_denorm_src 0
		.amdhsa_exception_fp_ieee_div_zero 0
		.amdhsa_exception_fp_ieee_overflow 0
		.amdhsa_exception_fp_ieee_underflow 0
		.amdhsa_exception_fp_ieee_inexact 0
		.amdhsa_exception_int_div_zero 0
	.end_amdhsa_kernel
	.section	.text._ZN9rocsparseL10bsr_gatherILj4ELj64ELj2Ei21rocsparse_complex_numIdEEEv20rocsparse_direction_T2_PKS4_PKT3_PS7_S4_,"axG",@progbits,_ZN9rocsparseL10bsr_gatherILj4ELj64ELj2Ei21rocsparse_complex_numIdEEEv20rocsparse_direction_T2_PKS4_PKT3_PS7_S4_,comdat
.Lfunc_end49:
	.size	_ZN9rocsparseL10bsr_gatherILj4ELj64ELj2Ei21rocsparse_complex_numIdEEEv20rocsparse_direction_T2_PKS4_PKT3_PS7_S4_, .Lfunc_end49-_ZN9rocsparseL10bsr_gatherILj4ELj64ELj2Ei21rocsparse_complex_numIdEEEv20rocsparse_direction_T2_PKS4_PKT3_PS7_S4_
                                        ; -- End function
	.set _ZN9rocsparseL10bsr_gatherILj4ELj64ELj2Ei21rocsparse_complex_numIdEEEv20rocsparse_direction_T2_PKS4_PKT3_PS7_S4_.num_vgpr, 14
	.set _ZN9rocsparseL10bsr_gatherILj4ELj64ELj2Ei21rocsparse_complex_numIdEEEv20rocsparse_direction_T2_PKS4_PKT3_PS7_S4_.num_agpr, 0
	.set _ZN9rocsparseL10bsr_gatherILj4ELj64ELj2Ei21rocsparse_complex_numIdEEEv20rocsparse_direction_T2_PKS4_PKT3_PS7_S4_.numbered_sgpr, 11
	.set _ZN9rocsparseL10bsr_gatherILj4ELj64ELj2Ei21rocsparse_complex_numIdEEEv20rocsparse_direction_T2_PKS4_PKT3_PS7_S4_.num_named_barrier, 0
	.set _ZN9rocsparseL10bsr_gatherILj4ELj64ELj2Ei21rocsparse_complex_numIdEEEv20rocsparse_direction_T2_PKS4_PKT3_PS7_S4_.private_seg_size, 0
	.set _ZN9rocsparseL10bsr_gatherILj4ELj64ELj2Ei21rocsparse_complex_numIdEEEv20rocsparse_direction_T2_PKS4_PKT3_PS7_S4_.uses_vcc, 1
	.set _ZN9rocsparseL10bsr_gatherILj4ELj64ELj2Ei21rocsparse_complex_numIdEEEv20rocsparse_direction_T2_PKS4_PKT3_PS7_S4_.uses_flat_scratch, 0
	.set _ZN9rocsparseL10bsr_gatherILj4ELj64ELj2Ei21rocsparse_complex_numIdEEEv20rocsparse_direction_T2_PKS4_PKT3_PS7_S4_.has_dyn_sized_stack, 0
	.set _ZN9rocsparseL10bsr_gatherILj4ELj64ELj2Ei21rocsparse_complex_numIdEEEv20rocsparse_direction_T2_PKS4_PKT3_PS7_S4_.has_recursion, 0
	.set _ZN9rocsparseL10bsr_gatherILj4ELj64ELj2Ei21rocsparse_complex_numIdEEEv20rocsparse_direction_T2_PKS4_PKT3_PS7_S4_.has_indirect_call, 0
	.section	.AMDGPU.csdata,"",@progbits
; Kernel info:
; codeLenInByte = 468
; TotalNumSgprs: 13
; NumVgprs: 14
; ScratchSize: 0
; MemoryBound: 0
; FloatMode: 240
; IeeeMode: 1
; LDSByteSize: 0 bytes/workgroup (compile time only)
; SGPRBlocks: 0
; VGPRBlocks: 0
; NumSGPRsForWavesPerEU: 13
; NumVGPRsForWavesPerEU: 14
; NamedBarCnt: 0
; Occupancy: 16
; WaveLimiterHint : 0
; COMPUTE_PGM_RSRC2:SCRATCH_EN: 0
; COMPUTE_PGM_RSRC2:USER_SGPR: 2
; COMPUTE_PGM_RSRC2:TRAP_HANDLER: 0
; COMPUTE_PGM_RSRC2:TGID_X_EN: 1
; COMPUTE_PGM_RSRC2:TGID_Y_EN: 0
; COMPUTE_PGM_RSRC2:TGID_Z_EN: 0
; COMPUTE_PGM_RSRC2:TIDIG_COMP_CNT: 1
	.section	.text._ZN9rocsparseL10bsr_gatherILj16ELj16ELj4Ei21rocsparse_complex_numIdEEEv20rocsparse_direction_T2_PKS4_PKT3_PS7_S4_,"axG",@progbits,_ZN9rocsparseL10bsr_gatherILj16ELj16ELj4Ei21rocsparse_complex_numIdEEEv20rocsparse_direction_T2_PKS4_PKT3_PS7_S4_,comdat
	.globl	_ZN9rocsparseL10bsr_gatherILj16ELj16ELj4Ei21rocsparse_complex_numIdEEEv20rocsparse_direction_T2_PKS4_PKT3_PS7_S4_ ; -- Begin function _ZN9rocsparseL10bsr_gatherILj16ELj16ELj4Ei21rocsparse_complex_numIdEEEv20rocsparse_direction_T2_PKS4_PKT3_PS7_S4_
	.p2align	8
	.type	_ZN9rocsparseL10bsr_gatherILj16ELj16ELj4Ei21rocsparse_complex_numIdEEEv20rocsparse_direction_T2_PKS4_PKT3_PS7_S4_,@function
_ZN9rocsparseL10bsr_gatherILj16ELj16ELj4Ei21rocsparse_complex_numIdEEEv20rocsparse_direction_T2_PKS4_PKT3_PS7_S4_: ; @_ZN9rocsparseL10bsr_gatherILj16ELj16ELj4Ei21rocsparse_complex_numIdEEEv20rocsparse_direction_T2_PKS4_PKT3_PS7_S4_
; %bb.0:
	s_load_b64 s[8:9], s[0:1], 0x0
	s_bfe_u32 s2, ttmp6, 0x4000c
	s_and_b32 s3, ttmp6, 15
	s_add_co_i32 s2, s2, 1
	v_bfe_u32 v1, v0, 10, 10
	s_mul_i32 s2, ttmp9, s2
	s_delay_alu instid0(SALU_CYCLE_1) | instskip(SKIP_1) | instid1(SALU_CYCLE_1)
	s_add_co_i32 s3, s3, s2
	s_getreg_b32 s2, hwreg(HW_REG_IB_STS2, 6, 4)
	s_cmp_eq_u32 s2, 0
	s_cselect_b32 s2, ttmp9, s3
	s_delay_alu instid0(SALU_CYCLE_1) | instskip(SKIP_2) | instid1(VALU_DEP_1)
	v_lshl_add_u32 v2, s2, 4, v1
	s_mov_b32 s2, exec_lo
	s_wait_kmcnt 0x0
	v_cmpx_gt_i32_e64 s9, v2
	s_cbranch_execz .LBB50_15
; %bb.1:
	s_load_b32 s9, s[0:1], 0x20
	v_and_b32_e32 v1, 3, v0
	s_wait_kmcnt 0x0
	s_delay_alu instid0(VALU_DEP_1)
	v_cmp_gt_i32_e32 vcc_lo, s9, v1
	s_and_b32 exec_lo, exec_lo, vcc_lo
	s_cbranch_execz .LBB50_15
; %bb.2:
	s_clause 0x1
	s_load_b128 s[4:7], s[0:1], 0x8
	s_load_b64 s[2:3], s[0:1], 0x18
	v_and_b32_e32 v0, 0x3ff, v0
	s_cmp_lg_u32 s8, 0
	s_wait_xcnt 0x0
	s_mov_b32 s1, 0
	s_delay_alu instid0(VALU_DEP_1) | instskip(NEXT) | instid1(VALU_DEP_1)
	v_lshrrev_b32_e32 v0, 2, v0
	v_cmp_gt_u32_e64 s0, s9, v0
	s_wait_kmcnt 0x0
	global_load_b32 v3, v2, s[4:5] scale_offset
	s_wait_xcnt 0x0
	v_mul_lo_u32 v2, s9, v2
	s_cselect_b32 s4, -1, 0
	s_lshl_b32 s5, s9, 2
	s_wait_loadcnt 0x0
	v_mul_lo_u32 v3, v3, s9
	s_delay_alu instid0(VALU_DEP_1) | instskip(NEXT) | instid1(VALU_DEP_1)
	v_dual_add_nc_u32 v4, v2, v1 :: v_dual_add_nc_u32 v5, v3, v1
	v_mul_lo_u32 v4, s9, v4
	s_delay_alu instid0(VALU_DEP_2)
	v_mul_lo_u32 v5, s9, v5
	s_branch .LBB50_4
.LBB50_3:                               ;   in Loop: Header=BB50_4 Depth=1
	s_or_b32 exec_lo, exec_lo, s8
	s_delay_alu instid0(VALU_DEP_2) | instskip(NEXT) | instid1(VALU_DEP_2)
	v_dual_add_nc_u32 v1, 4, v1 :: v_dual_add_nc_u32 v4, s5, v4
	v_add_nc_u32_e32 v5, s5, v5
	s_delay_alu instid0(VALU_DEP_2) | instskip(SKIP_1) | instid1(SALU_CYCLE_1)
	v_cmp_le_i32_e32 vcc_lo, s9, v1
	s_or_b32 s1, vcc_lo, s1
	s_and_not1_b32 exec_lo, exec_lo, s1
	s_cbranch_execz .LBB50_15
.LBB50_4:                               ; =>This Loop Header: Depth=1
                                        ;     Child Loop BB50_7 Depth 2
	s_and_saveexec_b32 s8, s0
	s_cbranch_execz .LBB50_3
; %bb.5:                                ;   in Loop: Header=BB50_4 Depth=1
	v_mov_b32_e32 v6, v0
	s_mov_b32 s10, 0
	s_branch .LBB50_7
.LBB50_6:                               ;   in Loop: Header=BB50_7 Depth=2
	global_load_b128 v[10:13], v7, s[6:7] scale_offset
	v_add_nc_u32_e32 v6, 4, v6
	s_delay_alu instid0(VALU_DEP_1)
	v_cmp_le_i32_e32 vcc_lo, s9, v6
	s_or_b32 s10, vcc_lo, s10
	s_wait_loadcnt 0x0
	global_store_b128 v8, v[10:13], s[2:3] scale_offset
	s_wait_xcnt 0x0
	s_and_not1_b32 exec_lo, exec_lo, s10
	s_cbranch_execz .LBB50_3
.LBB50_7:                               ;   Parent Loop BB50_4 Depth=1
                                        ; =>  This Inner Loop Header: Depth=2
	s_and_b32 vcc_lo, exec_lo, s4
	s_cbranch_vccz .LBB50_12
; %bb.8:                                ;   in Loop: Header=BB50_7 Depth=2
	s_delay_alu instid0(VALU_DEP_2)
	v_add_nc_u32_e32 v7, v5, v6
	s_cbranch_execnz .LBB50_10
.LBB50_9:                               ;   in Loop: Header=BB50_7 Depth=2
	v_add_nc_u32_e32 v7, v6, v3
	s_delay_alu instid0(VALU_DEP_1)
	v_mad_u32 v7, v7, s9, v1
.LBB50_10:                              ;   in Loop: Header=BB50_7 Depth=2
	s_and_b32 vcc_lo, exec_lo, s4
	s_cbranch_vccz .LBB50_13
; %bb.11:                               ;   in Loop: Header=BB50_7 Depth=2
	v_add_nc_u32_e32 v8, v6, v2
	s_delay_alu instid0(VALU_DEP_1)
	v_mad_u32 v8, v8, s9, v1
	s_cbranch_execnz .LBB50_6
	s_branch .LBB50_14
.LBB50_12:                              ;   in Loop: Header=BB50_7 Depth=2
                                        ; implicit-def: $vgpr7
	s_branch .LBB50_9
.LBB50_13:                              ;   in Loop: Header=BB50_7 Depth=2
                                        ; implicit-def: $vgpr8
.LBB50_14:                              ;   in Loop: Header=BB50_7 Depth=2
	v_add_nc_u32_e32 v8, v4, v6
	s_branch .LBB50_6
.LBB50_15:
	s_endpgm
	.section	.rodata,"a",@progbits
	.p2align	6, 0x0
	.amdhsa_kernel _ZN9rocsparseL10bsr_gatherILj16ELj16ELj4Ei21rocsparse_complex_numIdEEEv20rocsparse_direction_T2_PKS4_PKT3_PS7_S4_
		.amdhsa_group_segment_fixed_size 0
		.amdhsa_private_segment_fixed_size 0
		.amdhsa_kernarg_size 36
		.amdhsa_user_sgpr_count 2
		.amdhsa_user_sgpr_dispatch_ptr 0
		.amdhsa_user_sgpr_queue_ptr 0
		.amdhsa_user_sgpr_kernarg_segment_ptr 1
		.amdhsa_user_sgpr_dispatch_id 0
		.amdhsa_user_sgpr_kernarg_preload_length 0
		.amdhsa_user_sgpr_kernarg_preload_offset 0
		.amdhsa_user_sgpr_private_segment_size 0
		.amdhsa_wavefront_size32 1
		.amdhsa_uses_dynamic_stack 0
		.amdhsa_enable_private_segment 0
		.amdhsa_system_sgpr_workgroup_id_x 1
		.amdhsa_system_sgpr_workgroup_id_y 0
		.amdhsa_system_sgpr_workgroup_id_z 0
		.amdhsa_system_sgpr_workgroup_info 0
		.amdhsa_system_vgpr_workitem_id 1
		.amdhsa_next_free_vgpr 14
		.amdhsa_next_free_sgpr 11
		.amdhsa_named_barrier_count 0
		.amdhsa_reserve_vcc 1
		.amdhsa_float_round_mode_32 0
		.amdhsa_float_round_mode_16_64 0
		.amdhsa_float_denorm_mode_32 3
		.amdhsa_float_denorm_mode_16_64 3
		.amdhsa_fp16_overflow 0
		.amdhsa_memory_ordered 1
		.amdhsa_forward_progress 1
		.amdhsa_inst_pref_size 4
		.amdhsa_round_robin_scheduling 0
		.amdhsa_exception_fp_ieee_invalid_op 0
		.amdhsa_exception_fp_denorm_src 0
		.amdhsa_exception_fp_ieee_div_zero 0
		.amdhsa_exception_fp_ieee_overflow 0
		.amdhsa_exception_fp_ieee_underflow 0
		.amdhsa_exception_fp_ieee_inexact 0
		.amdhsa_exception_int_div_zero 0
	.end_amdhsa_kernel
	.section	.text._ZN9rocsparseL10bsr_gatherILj16ELj16ELj4Ei21rocsparse_complex_numIdEEEv20rocsparse_direction_T2_PKS4_PKT3_PS7_S4_,"axG",@progbits,_ZN9rocsparseL10bsr_gatherILj16ELj16ELj4Ei21rocsparse_complex_numIdEEEv20rocsparse_direction_T2_PKS4_PKT3_PS7_S4_,comdat
.Lfunc_end50:
	.size	_ZN9rocsparseL10bsr_gatherILj16ELj16ELj4Ei21rocsparse_complex_numIdEEEv20rocsparse_direction_T2_PKS4_PKT3_PS7_S4_, .Lfunc_end50-_ZN9rocsparseL10bsr_gatherILj16ELj16ELj4Ei21rocsparse_complex_numIdEEEv20rocsparse_direction_T2_PKS4_PKT3_PS7_S4_
                                        ; -- End function
	.set _ZN9rocsparseL10bsr_gatherILj16ELj16ELj4Ei21rocsparse_complex_numIdEEEv20rocsparse_direction_T2_PKS4_PKT3_PS7_S4_.num_vgpr, 14
	.set _ZN9rocsparseL10bsr_gatherILj16ELj16ELj4Ei21rocsparse_complex_numIdEEEv20rocsparse_direction_T2_PKS4_PKT3_PS7_S4_.num_agpr, 0
	.set _ZN9rocsparseL10bsr_gatherILj16ELj16ELj4Ei21rocsparse_complex_numIdEEEv20rocsparse_direction_T2_PKS4_PKT3_PS7_S4_.numbered_sgpr, 11
	.set _ZN9rocsparseL10bsr_gatherILj16ELj16ELj4Ei21rocsparse_complex_numIdEEEv20rocsparse_direction_T2_PKS4_PKT3_PS7_S4_.num_named_barrier, 0
	.set _ZN9rocsparseL10bsr_gatherILj16ELj16ELj4Ei21rocsparse_complex_numIdEEEv20rocsparse_direction_T2_PKS4_PKT3_PS7_S4_.private_seg_size, 0
	.set _ZN9rocsparseL10bsr_gatherILj16ELj16ELj4Ei21rocsparse_complex_numIdEEEv20rocsparse_direction_T2_PKS4_PKT3_PS7_S4_.uses_vcc, 1
	.set _ZN9rocsparseL10bsr_gatherILj16ELj16ELj4Ei21rocsparse_complex_numIdEEEv20rocsparse_direction_T2_PKS4_PKT3_PS7_S4_.uses_flat_scratch, 0
	.set _ZN9rocsparseL10bsr_gatherILj16ELj16ELj4Ei21rocsparse_complex_numIdEEEv20rocsparse_direction_T2_PKS4_PKT3_PS7_S4_.has_dyn_sized_stack, 0
	.set _ZN9rocsparseL10bsr_gatherILj16ELj16ELj4Ei21rocsparse_complex_numIdEEEv20rocsparse_direction_T2_PKS4_PKT3_PS7_S4_.has_recursion, 0
	.set _ZN9rocsparseL10bsr_gatherILj16ELj16ELj4Ei21rocsparse_complex_numIdEEEv20rocsparse_direction_T2_PKS4_PKT3_PS7_S4_.has_indirect_call, 0
	.section	.AMDGPU.csdata,"",@progbits
; Kernel info:
; codeLenInByte = 468
; TotalNumSgprs: 13
; NumVgprs: 14
; ScratchSize: 0
; MemoryBound: 0
; FloatMode: 240
; IeeeMode: 1
; LDSByteSize: 0 bytes/workgroup (compile time only)
; SGPRBlocks: 0
; VGPRBlocks: 0
; NumSGPRsForWavesPerEU: 13
; NumVGPRsForWavesPerEU: 14
; NamedBarCnt: 0
; Occupancy: 16
; WaveLimiterHint : 0
; COMPUTE_PGM_RSRC2:SCRATCH_EN: 0
; COMPUTE_PGM_RSRC2:USER_SGPR: 2
; COMPUTE_PGM_RSRC2:TRAP_HANDLER: 0
; COMPUTE_PGM_RSRC2:TGID_X_EN: 1
; COMPUTE_PGM_RSRC2:TGID_Y_EN: 0
; COMPUTE_PGM_RSRC2:TGID_Z_EN: 0
; COMPUTE_PGM_RSRC2:TIDIG_COMP_CNT: 1
	.section	.text._ZN9rocsparseL10bsr_gatherILj64ELj4ELj8Ei21rocsparse_complex_numIdEEEv20rocsparse_direction_T2_PKS4_PKT3_PS7_S4_,"axG",@progbits,_ZN9rocsparseL10bsr_gatherILj64ELj4ELj8Ei21rocsparse_complex_numIdEEEv20rocsparse_direction_T2_PKS4_PKT3_PS7_S4_,comdat
	.globl	_ZN9rocsparseL10bsr_gatherILj64ELj4ELj8Ei21rocsparse_complex_numIdEEEv20rocsparse_direction_T2_PKS4_PKT3_PS7_S4_ ; -- Begin function _ZN9rocsparseL10bsr_gatherILj64ELj4ELj8Ei21rocsparse_complex_numIdEEEv20rocsparse_direction_T2_PKS4_PKT3_PS7_S4_
	.p2align	8
	.type	_ZN9rocsparseL10bsr_gatherILj64ELj4ELj8Ei21rocsparse_complex_numIdEEEv20rocsparse_direction_T2_PKS4_PKT3_PS7_S4_,@function
_ZN9rocsparseL10bsr_gatherILj64ELj4ELj8Ei21rocsparse_complex_numIdEEEv20rocsparse_direction_T2_PKS4_PKT3_PS7_S4_: ; @_ZN9rocsparseL10bsr_gatherILj64ELj4ELj8Ei21rocsparse_complex_numIdEEEv20rocsparse_direction_T2_PKS4_PKT3_PS7_S4_
; %bb.0:
	s_load_b64 s[8:9], s[0:1], 0x0
	s_bfe_u32 s2, ttmp6, 0x4000c
	s_and_b32 s3, ttmp6, 15
	s_add_co_i32 s2, s2, 1
	v_bfe_u32 v1, v0, 10, 10
	s_mul_i32 s2, ttmp9, s2
	s_delay_alu instid0(SALU_CYCLE_1) | instskip(SKIP_1) | instid1(SALU_CYCLE_1)
	s_add_co_i32 s3, s3, s2
	s_getreg_b32 s2, hwreg(HW_REG_IB_STS2, 6, 4)
	s_cmp_eq_u32 s2, 0
	s_cselect_b32 s2, ttmp9, s3
	s_delay_alu instid0(SALU_CYCLE_1) | instskip(SKIP_2) | instid1(VALU_DEP_1)
	v_lshl_add_u32 v2, s2, 2, v1
	s_mov_b32 s2, exec_lo
	s_wait_kmcnt 0x0
	v_cmpx_gt_i32_e64 s9, v2
	s_cbranch_execz .LBB51_15
; %bb.1:
	s_load_b32 s9, s[0:1], 0x20
	v_and_b32_e32 v1, 7, v0
	s_wait_kmcnt 0x0
	s_delay_alu instid0(VALU_DEP_1)
	v_cmp_gt_i32_e32 vcc_lo, s9, v1
	s_and_b32 exec_lo, exec_lo, vcc_lo
	s_cbranch_execz .LBB51_15
; %bb.2:
	s_clause 0x1
	s_load_b128 s[4:7], s[0:1], 0x8
	s_load_b64 s[2:3], s[0:1], 0x18
	v_and_b32_e32 v0, 0x3ff, v0
	s_cmp_lg_u32 s8, 0
	s_wait_xcnt 0x0
	s_mov_b32 s1, 0
	s_delay_alu instid0(VALU_DEP_1) | instskip(NEXT) | instid1(VALU_DEP_1)
	v_lshrrev_b32_e32 v0, 3, v0
	v_cmp_gt_u32_e64 s0, s9, v0
	s_wait_kmcnt 0x0
	global_load_b32 v3, v2, s[4:5] scale_offset
	s_wait_xcnt 0x0
	v_mul_lo_u32 v2, s9, v2
	s_cselect_b32 s4, -1, 0
	s_lshl_b32 s5, s9, 3
	s_wait_loadcnt 0x0
	v_mul_lo_u32 v3, v3, s9
	s_delay_alu instid0(VALU_DEP_1) | instskip(NEXT) | instid1(VALU_DEP_1)
	v_dual_add_nc_u32 v4, v2, v1 :: v_dual_add_nc_u32 v5, v3, v1
	v_mul_lo_u32 v4, s9, v4
	s_delay_alu instid0(VALU_DEP_2)
	v_mul_lo_u32 v5, s9, v5
	s_branch .LBB51_4
.LBB51_3:                               ;   in Loop: Header=BB51_4 Depth=1
	s_or_b32 exec_lo, exec_lo, s8
	s_delay_alu instid0(VALU_DEP_2) | instskip(NEXT) | instid1(VALU_DEP_2)
	v_dual_add_nc_u32 v1, 8, v1 :: v_dual_add_nc_u32 v4, s5, v4
	v_add_nc_u32_e32 v5, s5, v5
	s_delay_alu instid0(VALU_DEP_2) | instskip(SKIP_1) | instid1(SALU_CYCLE_1)
	v_cmp_le_i32_e32 vcc_lo, s9, v1
	s_or_b32 s1, vcc_lo, s1
	s_and_not1_b32 exec_lo, exec_lo, s1
	s_cbranch_execz .LBB51_15
.LBB51_4:                               ; =>This Loop Header: Depth=1
                                        ;     Child Loop BB51_7 Depth 2
	s_and_saveexec_b32 s8, s0
	s_cbranch_execz .LBB51_3
; %bb.5:                                ;   in Loop: Header=BB51_4 Depth=1
	v_mov_b32_e32 v6, v0
	s_mov_b32 s10, 0
	s_branch .LBB51_7
.LBB51_6:                               ;   in Loop: Header=BB51_7 Depth=2
	global_load_b128 v[10:13], v7, s[6:7] scale_offset
	v_add_nc_u32_e32 v6, 8, v6
	s_delay_alu instid0(VALU_DEP_1)
	v_cmp_le_i32_e32 vcc_lo, s9, v6
	s_or_b32 s10, vcc_lo, s10
	s_wait_loadcnt 0x0
	global_store_b128 v8, v[10:13], s[2:3] scale_offset
	s_wait_xcnt 0x0
	s_and_not1_b32 exec_lo, exec_lo, s10
	s_cbranch_execz .LBB51_3
.LBB51_7:                               ;   Parent Loop BB51_4 Depth=1
                                        ; =>  This Inner Loop Header: Depth=2
	s_and_b32 vcc_lo, exec_lo, s4
	s_cbranch_vccz .LBB51_12
; %bb.8:                                ;   in Loop: Header=BB51_7 Depth=2
	s_delay_alu instid0(VALU_DEP_2)
	v_add_nc_u32_e32 v7, v5, v6
	s_cbranch_execnz .LBB51_10
.LBB51_9:                               ;   in Loop: Header=BB51_7 Depth=2
	v_add_nc_u32_e32 v7, v6, v3
	s_delay_alu instid0(VALU_DEP_1)
	v_mad_u32 v7, v7, s9, v1
.LBB51_10:                              ;   in Loop: Header=BB51_7 Depth=2
	s_and_b32 vcc_lo, exec_lo, s4
	s_cbranch_vccz .LBB51_13
; %bb.11:                               ;   in Loop: Header=BB51_7 Depth=2
	v_add_nc_u32_e32 v8, v6, v2
	s_delay_alu instid0(VALU_DEP_1)
	v_mad_u32 v8, v8, s9, v1
	s_cbranch_execnz .LBB51_6
	s_branch .LBB51_14
.LBB51_12:                              ;   in Loop: Header=BB51_7 Depth=2
                                        ; implicit-def: $vgpr7
	s_branch .LBB51_9
.LBB51_13:                              ;   in Loop: Header=BB51_7 Depth=2
                                        ; implicit-def: $vgpr8
.LBB51_14:                              ;   in Loop: Header=BB51_7 Depth=2
	v_add_nc_u32_e32 v8, v4, v6
	s_branch .LBB51_6
.LBB51_15:
	s_endpgm
	.section	.rodata,"a",@progbits
	.p2align	6, 0x0
	.amdhsa_kernel _ZN9rocsparseL10bsr_gatherILj64ELj4ELj8Ei21rocsparse_complex_numIdEEEv20rocsparse_direction_T2_PKS4_PKT3_PS7_S4_
		.amdhsa_group_segment_fixed_size 0
		.amdhsa_private_segment_fixed_size 0
		.amdhsa_kernarg_size 36
		.amdhsa_user_sgpr_count 2
		.amdhsa_user_sgpr_dispatch_ptr 0
		.amdhsa_user_sgpr_queue_ptr 0
		.amdhsa_user_sgpr_kernarg_segment_ptr 1
		.amdhsa_user_sgpr_dispatch_id 0
		.amdhsa_user_sgpr_kernarg_preload_length 0
		.amdhsa_user_sgpr_kernarg_preload_offset 0
		.amdhsa_user_sgpr_private_segment_size 0
		.amdhsa_wavefront_size32 1
		.amdhsa_uses_dynamic_stack 0
		.amdhsa_enable_private_segment 0
		.amdhsa_system_sgpr_workgroup_id_x 1
		.amdhsa_system_sgpr_workgroup_id_y 0
		.amdhsa_system_sgpr_workgroup_id_z 0
		.amdhsa_system_sgpr_workgroup_info 0
		.amdhsa_system_vgpr_workitem_id 1
		.amdhsa_next_free_vgpr 14
		.amdhsa_next_free_sgpr 11
		.amdhsa_named_barrier_count 0
		.amdhsa_reserve_vcc 1
		.amdhsa_float_round_mode_32 0
		.amdhsa_float_round_mode_16_64 0
		.amdhsa_float_denorm_mode_32 3
		.amdhsa_float_denorm_mode_16_64 3
		.amdhsa_fp16_overflow 0
		.amdhsa_memory_ordered 1
		.amdhsa_forward_progress 1
		.amdhsa_inst_pref_size 4
		.amdhsa_round_robin_scheduling 0
		.amdhsa_exception_fp_ieee_invalid_op 0
		.amdhsa_exception_fp_denorm_src 0
		.amdhsa_exception_fp_ieee_div_zero 0
		.amdhsa_exception_fp_ieee_overflow 0
		.amdhsa_exception_fp_ieee_underflow 0
		.amdhsa_exception_fp_ieee_inexact 0
		.amdhsa_exception_int_div_zero 0
	.end_amdhsa_kernel
	.section	.text._ZN9rocsparseL10bsr_gatherILj64ELj4ELj8Ei21rocsparse_complex_numIdEEEv20rocsparse_direction_T2_PKS4_PKT3_PS7_S4_,"axG",@progbits,_ZN9rocsparseL10bsr_gatherILj64ELj4ELj8Ei21rocsparse_complex_numIdEEEv20rocsparse_direction_T2_PKS4_PKT3_PS7_S4_,comdat
.Lfunc_end51:
	.size	_ZN9rocsparseL10bsr_gatherILj64ELj4ELj8Ei21rocsparse_complex_numIdEEEv20rocsparse_direction_T2_PKS4_PKT3_PS7_S4_, .Lfunc_end51-_ZN9rocsparseL10bsr_gatherILj64ELj4ELj8Ei21rocsparse_complex_numIdEEEv20rocsparse_direction_T2_PKS4_PKT3_PS7_S4_
                                        ; -- End function
	.set _ZN9rocsparseL10bsr_gatherILj64ELj4ELj8Ei21rocsparse_complex_numIdEEEv20rocsparse_direction_T2_PKS4_PKT3_PS7_S4_.num_vgpr, 14
	.set _ZN9rocsparseL10bsr_gatherILj64ELj4ELj8Ei21rocsparse_complex_numIdEEEv20rocsparse_direction_T2_PKS4_PKT3_PS7_S4_.num_agpr, 0
	.set _ZN9rocsparseL10bsr_gatherILj64ELj4ELj8Ei21rocsparse_complex_numIdEEEv20rocsparse_direction_T2_PKS4_PKT3_PS7_S4_.numbered_sgpr, 11
	.set _ZN9rocsparseL10bsr_gatherILj64ELj4ELj8Ei21rocsparse_complex_numIdEEEv20rocsparse_direction_T2_PKS4_PKT3_PS7_S4_.num_named_barrier, 0
	.set _ZN9rocsparseL10bsr_gatherILj64ELj4ELj8Ei21rocsparse_complex_numIdEEEv20rocsparse_direction_T2_PKS4_PKT3_PS7_S4_.private_seg_size, 0
	.set _ZN9rocsparseL10bsr_gatherILj64ELj4ELj8Ei21rocsparse_complex_numIdEEEv20rocsparse_direction_T2_PKS4_PKT3_PS7_S4_.uses_vcc, 1
	.set _ZN9rocsparseL10bsr_gatherILj64ELj4ELj8Ei21rocsparse_complex_numIdEEEv20rocsparse_direction_T2_PKS4_PKT3_PS7_S4_.uses_flat_scratch, 0
	.set _ZN9rocsparseL10bsr_gatherILj64ELj4ELj8Ei21rocsparse_complex_numIdEEEv20rocsparse_direction_T2_PKS4_PKT3_PS7_S4_.has_dyn_sized_stack, 0
	.set _ZN9rocsparseL10bsr_gatherILj64ELj4ELj8Ei21rocsparse_complex_numIdEEEv20rocsparse_direction_T2_PKS4_PKT3_PS7_S4_.has_recursion, 0
	.set _ZN9rocsparseL10bsr_gatherILj64ELj4ELj8Ei21rocsparse_complex_numIdEEEv20rocsparse_direction_T2_PKS4_PKT3_PS7_S4_.has_indirect_call, 0
	.section	.AMDGPU.csdata,"",@progbits
; Kernel info:
; codeLenInByte = 468
; TotalNumSgprs: 13
; NumVgprs: 14
; ScratchSize: 0
; MemoryBound: 0
; FloatMode: 240
; IeeeMode: 1
; LDSByteSize: 0 bytes/workgroup (compile time only)
; SGPRBlocks: 0
; VGPRBlocks: 0
; NumSGPRsForWavesPerEU: 13
; NumVGPRsForWavesPerEU: 14
; NamedBarCnt: 0
; Occupancy: 16
; WaveLimiterHint : 0
; COMPUTE_PGM_RSRC2:SCRATCH_EN: 0
; COMPUTE_PGM_RSRC2:USER_SGPR: 2
; COMPUTE_PGM_RSRC2:TRAP_HANDLER: 0
; COMPUTE_PGM_RSRC2:TGID_X_EN: 1
; COMPUTE_PGM_RSRC2:TGID_Y_EN: 0
; COMPUTE_PGM_RSRC2:TGID_Z_EN: 0
; COMPUTE_PGM_RSRC2:TIDIG_COMP_CNT: 1
	.section	.text._ZN9rocsparseL24bsrsm_upper_large_kernelILj256ELj16ELb1E21rocsparse_complex_numIdEEEviiPKiS4_PKT2_iPS5_iPiS4_S9_21rocsparse_index_base_20rocsparse_diag_type_20rocsparse_direction_,"axG",@progbits,_ZN9rocsparseL24bsrsm_upper_large_kernelILj256ELj16ELb1E21rocsparse_complex_numIdEEEviiPKiS4_PKT2_iPS5_iPiS4_S9_21rocsparse_index_base_20rocsparse_diag_type_20rocsparse_direction_,comdat
	.globl	_ZN9rocsparseL24bsrsm_upper_large_kernelILj256ELj16ELb1E21rocsparse_complex_numIdEEEviiPKiS4_PKT2_iPS5_iPiS4_S9_21rocsparse_index_base_20rocsparse_diag_type_20rocsparse_direction_ ; -- Begin function _ZN9rocsparseL24bsrsm_upper_large_kernelILj256ELj16ELb1E21rocsparse_complex_numIdEEEviiPKiS4_PKT2_iPS5_iPiS4_S9_21rocsparse_index_base_20rocsparse_diag_type_20rocsparse_direction_
	.p2align	8
	.type	_ZN9rocsparseL24bsrsm_upper_large_kernelILj256ELj16ELb1E21rocsparse_complex_numIdEEEviiPKiS4_PKT2_iPS5_iPiS4_S9_21rocsparse_index_base_20rocsparse_diag_type_20rocsparse_direction_,@function
_ZN9rocsparseL24bsrsm_upper_large_kernelILj256ELj16ELb1E21rocsparse_complex_numIdEEEviiPKiS4_PKT2_iPS5_iPiS4_S9_21rocsparse_index_base_20rocsparse_diag_type_20rocsparse_direction_: ; @_ZN9rocsparseL24bsrsm_upper_large_kernelILj256ELj16ELb1E21rocsparse_complex_numIdEEEviiPKiS4_PKT2_iPS5_iPiS4_S9_21rocsparse_index_base_20rocsparse_diag_type_20rocsparse_direction_
; %bb.0:
	s_clause 0x1
	s_load_b64 s[24:25], s[0:1], 0x0
	s_load_b128 s[8:11], s[0:1], 0x8
	s_bfe_u32 s4, ttmp6, 0x4000c
	s_and_b32 s3, ttmp6, 15
	s_add_co_i32 s4, s4, 1
	s_getreg_b32 s5, hwreg(HW_REG_IB_STS2, 6, 4)
	s_mul_i32 s4, ttmp9, s4
	v_dual_lshrrev_b32 v6, 4, v0 :: v_dual_bitop2_b32 v12, 15, v0 bitop3:0x40
	s_add_co_i32 s3, s3, s4
	s_wait_kmcnt 0x0
	s_cvt_f32_u32 s2, s24
	s_sub_co_i32 s6, 0, s24
	s_delay_alu instid0(SALU_CYCLE_2) | instskip(SKIP_1) | instid1(TRANS32_DEP_1)
	v_rcp_iflag_f32_e32 v1, s2
	v_nop
	v_readfirstlane_b32 s2, v1
	s_mul_f32 s2, s2, 0x4f7ffffe
	s_delay_alu instid0(SALU_CYCLE_3) | instskip(NEXT) | instid1(SALU_CYCLE_3)
	s_cvt_u32_f32 s2, s2
	s_mul_i32 s6, s6, s2
	s_delay_alu instid0(SALU_CYCLE_1) | instskip(NEXT) | instid1(SALU_CYCLE_1)
	s_mul_hi_u32 s6, s2, s6
	s_add_co_i32 s2, s2, s6
	s_cmp_eq_u32 s5, 0
	s_load_b128 s[4:7], s[0:1], 0x38
	s_cselect_b32 s3, ttmp9, s3
	s_delay_alu instid0(SALU_CYCLE_1) | instskip(NEXT) | instid1(SALU_CYCLE_1)
	s_mul_hi_u32 s2, s3, s2
	s_mul_i32 s12, s2, s24
	s_add_co_i32 s13, s2, 1
	s_sub_co_i32 s12, s3, s12
	s_delay_alu instid0(SALU_CYCLE_1)
	s_sub_co_i32 s14, s12, s24
	s_cmp_ge_u32 s12, s24
	s_cselect_b32 s2, s13, s2
	s_cselect_b32 s12, s14, s12
	s_add_co_i32 s13, s2, 1
	s_cmp_ge_u32 s12, s24
	s_cselect_b32 s19, s13, s2
	s_delay_alu instid0(SALU_CYCLE_1) | instskip(SKIP_4) | instid1(SALU_CYCLE_1)
	s_mul_i32 s15, s19, s24
	s_lshl_b32 s19, s19, 4
	s_sub_co_i32 s2, s3, s15
	v_or_b32_e32 v1, s19, v6
	s_ashr_i32 s3, s2, 31
	s_lshl_b64 s[12:13], s[2:3], 2
	s_load_b64 s[2:3], s[0:1], 0x48
	s_wait_kmcnt 0x0
	s_add_nc_u64 s[6:7], s[6:7], s[12:13]
	s_load_b96 s[12:14], s[0:1], 0x50
	v_cmp_gt_i32_e32 vcc_lo, s25, v1
	s_load_b32 s6, s[6:7], 0x0
	s_wait_kmcnt 0x0
	s_ashr_i32 s7, s6, 31
	s_delay_alu instid0(SALU_CYCLE_1) | instskip(NEXT) | instid1(SALU_CYCLE_1)
	s_lshl_b64 s[16:17], s[6:7], 2
	s_add_nc_u64 s[8:9], s[8:9], s[16:17]
	s_load_b64 s[26:27], s[8:9], 0x0
	s_clause 0x1
	s_load_b96 s[16:18], s[0:1], 0x18
	s_load_b96 s[20:22], s[0:1], 0x28
	s_wait_xcnt 0x0
	s_not_b32 s0, s12
	s_wait_kmcnt 0x0
	s_add_co_i32 s23, s27, s0
	v_cmp_eq_u32_e64 s0, 0, v0
	s_sub_co_i32 s26, s26, s12
	s_mul_i32 s7, s6, s18
	s_cmp_lt_i32 s23, s26
	s_cbranch_scc1 .LBB52_20
; %bb.1:
	v_mad_u32 v2, s18, s23, v12
	v_cmp_gt_i32_e64 s1, s18, v12
	v_mov_b32_e32 v8, 0
	s_cmp_lg_u32 s14, 0
	s_mul_i32 s29, s22, s18
	s_cselect_b32 s27, -1, 0
	s_and_b32 s1, vcc_lo, s1
	s_mul_i32 s30, s18, s18
	s_lshl_b32 s31, s18, 4
	v_mul_lo_u32 v7, s18, v2
	s_branch .LBB52_3
.LBB52_2:                               ;   in Loop: Header=BB52_3 Depth=1
                                        ; implicit-def: $vgpr7
	s_cbranch_execnz .LBB52_21
.LBB52_3:                               ; =>This Loop Header: Depth=1
                                        ;     Child Loop BB52_18 Depth 2
                                        ;       Child Loop BB52_19 Depth 3
                                        ;     Child Loop BB52_9 Depth 2
                                        ;       Child Loop BB52_11 Depth 3
	s_wait_xcnt 0x0
	v_mov_b32_e32 v2, s23
	global_load_b32 v2, v2, s[10:11] scale_offset
	s_wait_loadcnt 0x0
	v_readfirstlane_b32 s8, v2
	s_sub_co_i32 s28, s8, s12
	s_delay_alu instid0(SALU_CYCLE_1)
	s_cmp_le_i32 s28, s6
	s_cbranch_scc1 .LBB52_2
; %bb.4:                                ;   in Loop: Header=BB52_3 Depth=1
	s_wait_xcnt 0x0
	s_and_saveexec_b32 s33, s0
	s_cbranch_execz .LBB52_6
; %bb.5:                                ;   in Loop: Header=BB52_3 Depth=1
	s_add_co_i32 s8, s28, s15
	s_delay_alu instid0(SALU_CYCLE_1)
	v_mov_b32_e32 v2, s8
	global_load_b32 v2, v2, s[4:5] scale_offset scope:SCOPE_DEV
	s_wait_loadcnt 0x0
	v_cmp_ne_u32_e32 vcc_lo, 0, v2
	s_cbranch_vccz .LBB52_16
.LBB52_6:                               ;   in Loop: Header=BB52_3 Depth=1
	s_wait_xcnt 0x0
	s_or_b32 exec_lo, exec_lo, s33
	global_wb scope:SCOPE_DEV
	s_wait_storecnt 0x0
	global_inv scope:SCOPE_DEV
	s_wait_loadcnt 0x0
	s_barrier_signal -1
	s_barrier_wait -1
	s_and_saveexec_b32 s8, s1
	s_cbranch_execz .LBB52_15
; %bb.7:                                ;   in Loop: Header=BB52_3 Depth=1
	v_mad_u32 v9, s29, s28, v1
	v_dual_mov_b32 v10, v7 :: v_dual_mov_b32 v11, v12
	s_mul_i32 s9, s23, s18
	s_mov_b32 s33, 0
	s_branch .LBB52_9
.LBB52_8:                               ;   in Loop: Header=BB52_9 Depth=2
	v_dual_add_nc_u32 v13, s7, v11 :: v_dual_add_nc_u32 v11, 16, v11
	v_add_nc_u32_e32 v10, s31, v10
	s_delay_alu instid0(VALU_DEP_2) | instskip(NEXT) | instid1(VALU_DEP_3)
	v_mad_u32 v13, v13, s22, v1
	v_cmp_le_i32_e32 vcc_lo, s18, v11
	s_or_b32 s33, vcc_lo, s33
	global_load_b128 v[14:17], v13, s[20:21] scale_offset
	s_wait_loadcnt 0x0
	v_add_f64_e64 v[14:15], v[14:15], -v[4:5]
	v_add_f64_e64 v[16:17], v[16:17], -v[2:3]
	global_store_b128 v13, v[14:17], s[20:21] scale_offset
	s_wait_xcnt 0x0
	s_and_not1_b32 exec_lo, exec_lo, s33
	s_cbranch_execz .LBB52_15
.LBB52_9:                               ;   Parent Loop BB52_3 Depth=1
                                        ; =>  This Loop Header: Depth=2
                                        ;       Child Loop BB52_11 Depth 3
	v_mov_b64_e32 v[2:3], 0
	v_mov_b64_e32 v[4:5], 0
	s_delay_alu instid0(VALU_DEP_4)
	v_mov_b32_e32 v13, v9
	s_mov_b32 s34, 0
	s_branch .LBB52_11
.LBB52_10:                              ;   in Loop: Header=BB52_11 Depth=3
	global_load_b128 v[16:19], v14, s[16:17] scale_offset
	global_load_b128 v[20:23], v13, s[20:21] scale_offset
	s_add_co_i32 s34, s34, 1
	s_wait_xcnt 0x0
	v_add_nc_u32_e32 v13, s22, v13
	s_cmp_eq_u32 s18, s34
	s_wait_loadcnt 0x0
	v_fmac_f64_e32 v[4:5], v[16:17], v[20:21]
	v_fmac_f64_e32 v[2:3], v[18:19], v[20:21]
	s_delay_alu instid0(VALU_DEP_2) | instskip(NEXT) | instid1(VALU_DEP_2)
	v_fma_f64 v[4:5], -v[18:19], v[22:23], v[4:5]
	v_fmac_f64_e32 v[2:3], v[16:17], v[22:23]
	s_cbranch_scc1 .LBB52_8
.LBB52_11:                              ;   Parent Loop BB52_3 Depth=1
                                        ;     Parent Loop BB52_9 Depth=2
                                        ; =>    This Inner Loop Header: Depth=3
	s_and_b32 vcc_lo, exec_lo, s27
	s_cbranch_vccz .LBB52_13
; %bb.12:                               ;   in Loop: Header=BB52_11 Depth=3
	s_add_co_i32 s35, s34, s9
	s_delay_alu instid0(SALU_CYCLE_1)
	v_mad_u32 v14, s35, s18, v11
	s_cbranch_execnz .LBB52_10
	s_branch .LBB52_14
.LBB52_13:                              ;   in Loop: Header=BB52_11 Depth=3
                                        ; implicit-def: $vgpr14
.LBB52_14:                              ;   in Loop: Header=BB52_11 Depth=3
	v_add_nc_u32_e32 v14, s34, v10
	s_branch .LBB52_10
.LBB52_15:                              ;   in Loop: Header=BB52_3 Depth=1
	s_or_b32 exec_lo, exec_lo, s8
	s_add_co_i32 s9, s23, -1
	s_cmp_le_i32 s23, s26
	v_subrev_nc_u32_e32 v7, s30, v7
	s_cselect_b32 s8, -1, 0
	s_mov_b32 s23, s9
	s_and_b32 vcc_lo, exec_lo, s8
	s_cbranch_vccz .LBB52_3
	s_branch .LBB52_21
.LBB52_16:                              ;   in Loop: Header=BB52_3 Depth=1
	s_ashr_i32 s9, s8, 31
	s_mov_b32 s34, 0
	s_lshl_b64 s[8:9], s[8:9], 2
	s_delay_alu instid0(SALU_CYCLE_1)
	s_add_nc_u64 s[8:9], s[4:5], s[8:9]
	s_branch .LBB52_18
.LBB52_17:                              ;   in Loop: Header=BB52_18 Depth=2
	global_load_b32 v2, v8, s[8:9] scope:SCOPE_DEV
	s_cmp_lt_u32 s34, 0xf43
	s_cselect_b32 s35, -1, 0
	s_delay_alu instid0(SALU_CYCLE_1)
	s_cmp_lg_u32 s35, 0
	s_add_co_ci_u32 s34, s34, 0
	s_wait_loadcnt 0x0
	v_cmp_ne_u32_e32 vcc_lo, 0, v2
	s_cbranch_vccnz .LBB52_6
.LBB52_18:                              ;   Parent Loop BB52_3 Depth=1
                                        ; =>  This Loop Header: Depth=2
                                        ;       Child Loop BB52_19 Depth 3
	s_cmp_eq_u32 s34, 0
	s_mov_b32 s35, s34
	s_cbranch_scc1 .LBB52_17
.LBB52_19:                              ;   Parent Loop BB52_3 Depth=1
                                        ;     Parent Loop BB52_18 Depth=2
                                        ; =>    This Inner Loop Header: Depth=3
	s_add_co_i32 s35, s35, -1
	s_sleep 1
	s_cmp_eq_u32 s35, 0
	s_cbranch_scc0 .LBB52_19
	s_branch .LBB52_17
.LBB52_20:
	s_mov_b32 s28, s24
.LBB52_21:
	s_cmp_lt_i32 s6, s24
	v_cmp_gt_i32_e32 vcc_lo, s25, v1
	s_cselect_b32 s1, -1, 0
	s_cmp_eq_u32 s6, s28
	s_cselect_b32 s0, -1, 0
	s_delay_alu instid0(SALU_CYCLE_1) | instskip(SKIP_2) | instid1(SALU_CYCLE_1)
	s_and_b32 s0, vcc_lo, s0
	s_cmp_gt_i32 s18, 0
	s_cselect_b32 s8, -1, 0
	s_and_b32 s8, s0, s8
	s_mov_b32 s0, 0
	s_and_b32 s9, s8, s1
	s_wait_xcnt 0x0
	s_and_saveexec_b32 s8, s9
	s_cbranch_execz .LBB52_38
; %bb.22:
	v_add_nc_u32_e32 v2, s7, v12
	s_cmp_eq_u32 s13, 0
	s_mov_b32 s13, 0
	s_cselect_b32 s9, -1, 0
	s_cmp_lg_u32 s14, 0
	v_mul_lo_u32 v2, s22, v2
	s_cselect_b32 s10, -1, 0
	s_add_co_i32 s0, s23, 1
	s_mul_i32 s11, s23, s18
	s_mul_i32 s0, s18, s0
	s_lshl_b32 s14, s22, 4
	s_add_co_i32 s0, s0, -1
	s_mov_b32 s23, s18
	s_delay_alu instid0(VALU_DEP_1)
	v_add3_u32 v13, v6, v2, s19
	s_mul_i32 s19, s18, s0
	s_and_not1_b32 vcc_lo, exec_lo, s9
	s_add_co_i32 s24, s23, -1
	s_cbranch_vccz .LBB52_24
.LBB52_23:
	v_mov_b64_e32 v[8:9], 0
	v_mov_b64_e32 v[6:7], 1.0
	s_branch .LBB52_25
.LBB52_24:
	s_add_co_i32 s0, s24, s11
	s_delay_alu instid0(SALU_CYCLE_1) | instskip(NEXT) | instid1(SALU_CYCLE_1)
	s_mul_i32 s0, s0, s18
	s_add_co_i32 s0, s0, s24
	s_wait_loadcnt 0x0
	v_mov_b32_e32 v2, s0
	global_load_b128 v[6:9], v2, s[16:17] scale_offset
.LBB52_25:
	s_add_co_i32 s0, s24, s7
	s_wait_loadcnt 0x0
	s_delay_alu instid0(VALU_DEP_1) | instskip(SKIP_4) | instid1(SALU_CYCLE_1)
	v_cmp_eq_f64_e32 vcc_lo, 0, v[6:7]
	v_mad_u32 v10, s0, s22, v1
	v_cmp_eq_f64_e64 s0, 0, v[8:9]
	global_load_b128 v[2:5], v10, s[20:21] scale_offset
	s_and_b32 s0, vcc_lo, s0
	s_and_b32 vcc_lo, exec_lo, s0
	s_cbranch_vccnz .LBB52_27
; %bb.26:
	v_dual_mul_f64 v[14:15], v[8:9], v[8:9] :: v_dual_ashrrev_i32 v11, 31, v10
	s_wait_xcnt 0x0
	s_delay_alu instid0(VALU_DEP_1) | instskip(NEXT) | instid1(VALU_DEP_2)
	v_lshl_add_u64 v[10:11], v[10:11], 4, s[20:21]
	v_fmac_f64_e32 v[14:15], v[6:7], v[6:7]
	s_delay_alu instid0(VALU_DEP_1) | instskip(SKIP_1) | instid1(VALU_DEP_2)
	v_div_scale_f64 v[16:17], null, v[14:15], v[14:15], 1.0
	v_div_scale_f64 v[22:23], vcc_lo, 1.0, v[14:15], 1.0
	v_rcp_f64_e32 v[18:19], v[16:17]
	v_nop
	s_delay_alu instid0(TRANS32_DEP_1) | instskip(NEXT) | instid1(VALU_DEP_1)
	v_fma_f64 v[20:21], -v[16:17], v[18:19], 1.0
	v_fmac_f64_e32 v[18:19], v[18:19], v[20:21]
	s_delay_alu instid0(VALU_DEP_1) | instskip(NEXT) | instid1(VALU_DEP_1)
	v_fma_f64 v[20:21], -v[16:17], v[18:19], 1.0
	v_fmac_f64_e32 v[18:19], v[18:19], v[20:21]
	s_delay_alu instid0(VALU_DEP_1) | instskip(NEXT) | instid1(VALU_DEP_1)
	v_mul_f64_e32 v[20:21], v[22:23], v[18:19]
	v_fma_f64 v[16:17], -v[16:17], v[20:21], v[22:23]
	s_wait_loadcnt 0x0
	v_mul_f64_e64 v[22:23], v[8:9], -v[2:3]
	s_delay_alu instid0(VALU_DEP_2) | instskip(SKIP_1) | instid1(VALU_DEP_3)
	v_div_fmas_f64 v[16:17], v[16:17], v[18:19], v[20:21]
	v_mul_f64_e32 v[18:19], v[8:9], v[4:5]
	v_fmac_f64_e32 v[22:23], v[4:5], v[6:7]
	s_delay_alu instid0(VALU_DEP_3) | instskip(NEXT) | instid1(VALU_DEP_3)
	v_div_fixup_f64 v[4:5], v[16:17], v[14:15], 1.0
	v_fmac_f64_e32 v[18:19], v[2:3], v[6:7]
	s_delay_alu instid0(VALU_DEP_2) | instskip(NEXT) | instid1(VALU_DEP_2)
	v_mul_f64_e32 v[8:9], v[4:5], v[22:23]
	v_mul_f64_e32 v[6:7], v[4:5], v[18:19]
	s_delay_alu instid0(VALU_DEP_2) | instskip(NEXT) | instid1(VALU_DEP_2)
	v_mov_b64_e32 v[4:5], v[8:9]
	v_mov_b64_e32 v[2:3], v[6:7]
	global_store_b128 v[10:11], v[6:9], off
	s_mov_b32 s0, exec_lo
	s_wait_xcnt 0x0
	v_cmpx_gt_i32_e64 s24, v12
	s_cbranch_execnz .LBB52_28
	s_branch .LBB52_34
.LBB52_27:
	s_mov_b32 s13, -1
	s_mov_b32 s0, exec_lo
	s_wait_xcnt 0x0
	v_cmpx_gt_i32_e64 s24, v12
	s_cbranch_execz .LBB52_34
.LBB52_28:
	v_dual_mov_b32 v6, v13 :: v_dual_mov_b32 v7, v12
	s_mov_b32 s25, 0
	s_branch .LBB52_30
.LBB52_29:                              ;   in Loop: Header=BB52_30 Depth=1
	global_load_b128 v[14:17], v8, s[16:17] scale_offset
	global_load_b128 v[18:21], v6, s[20:21] scale_offset
	v_add_nc_u32_e32 v7, 16, v7
	s_delay_alu instid0(VALU_DEP_1)
	v_cmp_le_i32_e32 vcc_lo, s24, v7
	s_or_b32 s25, vcc_lo, s25
	s_wait_loadcnt 0x1
	s_wait_xcnt 0x1
	v_mul_f64_e64 v[8:9], v[16:17], -v[4:5]
	v_mul_f64_e32 v[10:11], v[2:3], v[16:17]
	s_delay_alu instid0(VALU_DEP_2) | instskip(NEXT) | instid1(VALU_DEP_2)
	v_fmac_f64_e32 v[8:9], v[2:3], v[14:15]
	v_fmac_f64_e32 v[10:11], v[4:5], v[14:15]
	s_wait_loadcnt 0x0
	s_delay_alu instid0(VALU_DEP_2) | instskip(NEXT) | instid1(VALU_DEP_2)
	v_add_f64_e64 v[8:9], v[18:19], -v[8:9]
	v_add_f64_e64 v[10:11], v[20:21], -v[10:11]
	global_store_b128 v6, v[8:11], s[20:21] scale_offset
	s_wait_xcnt 0x0
	v_add_nc_u32_e32 v6, s14, v6
	s_and_not1_b32 exec_lo, exec_lo, s25
	s_cbranch_execz .LBB52_34
.LBB52_30:                              ; =>This Inner Loop Header: Depth=1
	s_and_b32 vcc_lo, exec_lo, s10
	s_cbranch_vccz .LBB52_32
; %bb.31:                               ;   in Loop: Header=BB52_30 Depth=1
	v_add_nc_u32_e32 v8, s19, v7
	s_cbranch_execnz .LBB52_29
	s_branch .LBB52_33
.LBB52_32:                              ;   in Loop: Header=BB52_30 Depth=1
                                        ; implicit-def: $vgpr8
.LBB52_33:                              ;   in Loop: Header=BB52_30 Depth=1
	v_add_nc_u32_e32 v8, s11, v7
	s_delay_alu instid0(VALU_DEP_1)
	v_mad_u32 v8, v8, s18, s24
	s_branch .LBB52_29
.LBB52_34:
	s_or_b32 exec_lo, exec_lo, s0
; %bb.35:
	s_sub_co_i32 s19, s19, s18
	s_cmp_lt_i32 s23, 2
	s_cbranch_scc1 .LBB52_37
; %bb.36:
	s_mov_b32 s23, s24
	s_and_not1_b32 vcc_lo, exec_lo, s9
	s_add_co_i32 s24, s23, -1
	s_cbranch_vccnz .LBB52_23
	s_branch .LBB52_24
.LBB52_37:
	s_and_b32 s0, s13, exec_lo
.LBB52_38:
	s_or_b32 exec_lo, exec_lo, s8
	v_cmp_eq_u32_e32 vcc_lo, 0, v0
	global_wb scope:SCOPE_DEV
	s_wait_loadcnt 0x0
	s_wait_storecnt 0x0
	global_inv scope:SCOPE_DEV
	s_wait_loadcnt 0x0
	s_barrier_signal -1
	s_barrier_wait -1
	s_and_b32 s1, vcc_lo, s1
	s_delay_alu instid0(SALU_CYCLE_1)
	s_and_saveexec_b32 s7, s1
	s_cbranch_execz .LBB52_42
; %bb.39:
	s_add_co_i32 s1, s6, s15
	s_delay_alu instid0(SALU_CYCLE_1)
	v_dual_mov_b32 v0, 1 :: v_dual_mov_b32 v1, s1
	global_store_b32 v1, v0, s[4:5] scale_offset scope:SCOPE_DEV
	s_wait_xcnt 0x0
	s_and_b32 exec_lo, exec_lo, s0
	s_cbranch_execz .LBB52_42
; %bb.40:
	v_mbcnt_lo_u32_b32 v0, exec_lo, 0
	s_delay_alu instid0(VALU_DEP_1)
	v_cmp_eq_u32_e32 vcc_lo, 0, v0
	s_and_b32 exec_lo, exec_lo, vcc_lo
	s_cbranch_execz .LBB52_42
; %bb.41:
	s_add_co_i32 s0, s6, s12
	s_delay_alu instid0(SALU_CYCLE_1)
	v_dual_mov_b32 v0, 0 :: v_dual_mov_b32 v1, s0
	global_atomic_min_i32 v0, v1, s[2:3] scope:SCOPE_DEV
.LBB52_42:
	s_endpgm
	.section	.rodata,"a",@progbits
	.p2align	6, 0x0
	.amdhsa_kernel _ZN9rocsparseL24bsrsm_upper_large_kernelILj256ELj16ELb1E21rocsparse_complex_numIdEEEviiPKiS4_PKT2_iPS5_iPiS4_S9_21rocsparse_index_base_20rocsparse_diag_type_20rocsparse_direction_
		.amdhsa_group_segment_fixed_size 0
		.amdhsa_private_segment_fixed_size 0
		.amdhsa_kernarg_size 92
		.amdhsa_user_sgpr_count 2
		.amdhsa_user_sgpr_dispatch_ptr 0
		.amdhsa_user_sgpr_queue_ptr 0
		.amdhsa_user_sgpr_kernarg_segment_ptr 1
		.amdhsa_user_sgpr_dispatch_id 0
		.amdhsa_user_sgpr_kernarg_preload_length 0
		.amdhsa_user_sgpr_kernarg_preload_offset 0
		.amdhsa_user_sgpr_private_segment_size 0
		.amdhsa_wavefront_size32 1
		.amdhsa_uses_dynamic_stack 0
		.amdhsa_enable_private_segment 0
		.amdhsa_system_sgpr_workgroup_id_x 1
		.amdhsa_system_sgpr_workgroup_id_y 0
		.amdhsa_system_sgpr_workgroup_id_z 0
		.amdhsa_system_sgpr_workgroup_info 0
		.amdhsa_system_vgpr_workitem_id 0
		.amdhsa_next_free_vgpr 24
		.amdhsa_next_free_sgpr 36
		.amdhsa_named_barrier_count 0
		.amdhsa_reserve_vcc 1
		.amdhsa_float_round_mode_32 0
		.amdhsa_float_round_mode_16_64 0
		.amdhsa_float_denorm_mode_32 3
		.amdhsa_float_denorm_mode_16_64 3
		.amdhsa_fp16_overflow 0
		.amdhsa_memory_ordered 1
		.amdhsa_forward_progress 1
		.amdhsa_inst_pref_size 15
		.amdhsa_round_robin_scheduling 0
		.amdhsa_exception_fp_ieee_invalid_op 0
		.amdhsa_exception_fp_denorm_src 0
		.amdhsa_exception_fp_ieee_div_zero 0
		.amdhsa_exception_fp_ieee_overflow 0
		.amdhsa_exception_fp_ieee_underflow 0
		.amdhsa_exception_fp_ieee_inexact 0
		.amdhsa_exception_int_div_zero 0
	.end_amdhsa_kernel
	.section	.text._ZN9rocsparseL24bsrsm_upper_large_kernelILj256ELj16ELb1E21rocsparse_complex_numIdEEEviiPKiS4_PKT2_iPS5_iPiS4_S9_21rocsparse_index_base_20rocsparse_diag_type_20rocsparse_direction_,"axG",@progbits,_ZN9rocsparseL24bsrsm_upper_large_kernelILj256ELj16ELb1E21rocsparse_complex_numIdEEEviiPKiS4_PKT2_iPS5_iPiS4_S9_21rocsparse_index_base_20rocsparse_diag_type_20rocsparse_direction_,comdat
.Lfunc_end52:
	.size	_ZN9rocsparseL24bsrsm_upper_large_kernelILj256ELj16ELb1E21rocsparse_complex_numIdEEEviiPKiS4_PKT2_iPS5_iPiS4_S9_21rocsparse_index_base_20rocsparse_diag_type_20rocsparse_direction_, .Lfunc_end52-_ZN9rocsparseL24bsrsm_upper_large_kernelILj256ELj16ELb1E21rocsparse_complex_numIdEEEviiPKiS4_PKT2_iPS5_iPiS4_S9_21rocsparse_index_base_20rocsparse_diag_type_20rocsparse_direction_
                                        ; -- End function
	.set _ZN9rocsparseL24bsrsm_upper_large_kernelILj256ELj16ELb1E21rocsparse_complex_numIdEEEviiPKiS4_PKT2_iPS5_iPiS4_S9_21rocsparse_index_base_20rocsparse_diag_type_20rocsparse_direction_.num_vgpr, 24
	.set _ZN9rocsparseL24bsrsm_upper_large_kernelILj256ELj16ELb1E21rocsparse_complex_numIdEEEviiPKiS4_PKT2_iPS5_iPiS4_S9_21rocsparse_index_base_20rocsparse_diag_type_20rocsparse_direction_.num_agpr, 0
	.set _ZN9rocsparseL24bsrsm_upper_large_kernelILj256ELj16ELb1E21rocsparse_complex_numIdEEEviiPKiS4_PKT2_iPS5_iPiS4_S9_21rocsparse_index_base_20rocsparse_diag_type_20rocsparse_direction_.numbered_sgpr, 36
	.set _ZN9rocsparseL24bsrsm_upper_large_kernelILj256ELj16ELb1E21rocsparse_complex_numIdEEEviiPKiS4_PKT2_iPS5_iPiS4_S9_21rocsparse_index_base_20rocsparse_diag_type_20rocsparse_direction_.num_named_barrier, 0
	.set _ZN9rocsparseL24bsrsm_upper_large_kernelILj256ELj16ELb1E21rocsparse_complex_numIdEEEviiPKiS4_PKT2_iPS5_iPiS4_S9_21rocsparse_index_base_20rocsparse_diag_type_20rocsparse_direction_.private_seg_size, 0
	.set _ZN9rocsparseL24bsrsm_upper_large_kernelILj256ELj16ELb1E21rocsparse_complex_numIdEEEviiPKiS4_PKT2_iPS5_iPiS4_S9_21rocsparse_index_base_20rocsparse_diag_type_20rocsparse_direction_.uses_vcc, 1
	.set _ZN9rocsparseL24bsrsm_upper_large_kernelILj256ELj16ELb1E21rocsparse_complex_numIdEEEviiPKiS4_PKT2_iPS5_iPiS4_S9_21rocsparse_index_base_20rocsparse_diag_type_20rocsparse_direction_.uses_flat_scratch, 0
	.set _ZN9rocsparseL24bsrsm_upper_large_kernelILj256ELj16ELb1E21rocsparse_complex_numIdEEEviiPKiS4_PKT2_iPS5_iPiS4_S9_21rocsparse_index_base_20rocsparse_diag_type_20rocsparse_direction_.has_dyn_sized_stack, 0
	.set _ZN9rocsparseL24bsrsm_upper_large_kernelILj256ELj16ELb1E21rocsparse_complex_numIdEEEviiPKiS4_PKT2_iPS5_iPiS4_S9_21rocsparse_index_base_20rocsparse_diag_type_20rocsparse_direction_.has_recursion, 0
	.set _ZN9rocsparseL24bsrsm_upper_large_kernelILj256ELj16ELb1E21rocsparse_complex_numIdEEEviiPKiS4_PKT2_iPS5_iPiS4_S9_21rocsparse_index_base_20rocsparse_diag_type_20rocsparse_direction_.has_indirect_call, 0
	.section	.AMDGPU.csdata,"",@progbits
; Kernel info:
; codeLenInByte = 1820
; TotalNumSgprs: 38
; NumVgprs: 24
; ScratchSize: 0
; MemoryBound: 0
; FloatMode: 240
; IeeeMode: 1
; LDSByteSize: 0 bytes/workgroup (compile time only)
; SGPRBlocks: 0
; VGPRBlocks: 1
; NumSGPRsForWavesPerEU: 38
; NumVGPRsForWavesPerEU: 24
; NamedBarCnt: 0
; Occupancy: 16
; WaveLimiterHint : 1
; COMPUTE_PGM_RSRC2:SCRATCH_EN: 0
; COMPUTE_PGM_RSRC2:USER_SGPR: 2
; COMPUTE_PGM_RSRC2:TRAP_HANDLER: 0
; COMPUTE_PGM_RSRC2:TGID_X_EN: 1
; COMPUTE_PGM_RSRC2:TGID_Y_EN: 0
; COMPUTE_PGM_RSRC2:TGID_Z_EN: 0
; COMPUTE_PGM_RSRC2:TIDIG_COMP_CNT: 0
	.section	.text._ZN9rocsparseL24bsrsm_lower_large_kernelILj256ELj16ELb1E21rocsparse_complex_numIdEEEviiPKiS4_PKT2_iPS5_iPiS4_S9_21rocsparse_index_base_20rocsparse_diag_type_20rocsparse_direction_,"axG",@progbits,_ZN9rocsparseL24bsrsm_lower_large_kernelILj256ELj16ELb1E21rocsparse_complex_numIdEEEviiPKiS4_PKT2_iPS5_iPiS4_S9_21rocsparse_index_base_20rocsparse_diag_type_20rocsparse_direction_,comdat
	.globl	_ZN9rocsparseL24bsrsm_lower_large_kernelILj256ELj16ELb1E21rocsparse_complex_numIdEEEviiPKiS4_PKT2_iPS5_iPiS4_S9_21rocsparse_index_base_20rocsparse_diag_type_20rocsparse_direction_ ; -- Begin function _ZN9rocsparseL24bsrsm_lower_large_kernelILj256ELj16ELb1E21rocsparse_complex_numIdEEEviiPKiS4_PKT2_iPS5_iPiS4_S9_21rocsparse_index_base_20rocsparse_diag_type_20rocsparse_direction_
	.p2align	8
	.type	_ZN9rocsparseL24bsrsm_lower_large_kernelILj256ELj16ELb1E21rocsparse_complex_numIdEEEviiPKiS4_PKT2_iPS5_iPiS4_S9_21rocsparse_index_base_20rocsparse_diag_type_20rocsparse_direction_,@function
_ZN9rocsparseL24bsrsm_lower_large_kernelILj256ELj16ELb1E21rocsparse_complex_numIdEEEviiPKiS4_PKT2_iPS5_iPiS4_S9_21rocsparse_index_base_20rocsparse_diag_type_20rocsparse_direction_: ; @_ZN9rocsparseL24bsrsm_lower_large_kernelILj256ELj16ELb1E21rocsparse_complex_numIdEEEviiPKiS4_PKT2_iPS5_iPiS4_S9_21rocsparse_index_base_20rocsparse_diag_type_20rocsparse_direction_
; %bb.0:
	s_clause 0x1
	s_load_b64 s[24:25], s[0:1], 0x0
	s_load_b128 s[8:11], s[0:1], 0x8
	s_bfe_u32 s4, ttmp6, 0x4000c
	s_and_b32 s3, ttmp6, 15
	s_add_co_i32 s4, s4, 1
	s_getreg_b32 s5, hwreg(HW_REG_IB_STS2, 6, 4)
	s_mul_i32 s4, ttmp9, s4
	v_dual_lshrrev_b32 v6, 4, v0 :: v_dual_bitop2_b32 v7, 15, v0 bitop3:0x40
	s_add_co_i32 s3, s3, s4
	s_wait_kmcnt 0x0
	s_cvt_f32_u32 s2, s24
	s_sub_co_i32 s6, 0, s24
	s_delay_alu instid0(SALU_CYCLE_2) | instskip(SKIP_1) | instid1(TRANS32_DEP_1)
	v_rcp_iflag_f32_e32 v1, s2
	v_nop
	v_readfirstlane_b32 s2, v1
	s_mul_f32 s2, s2, 0x4f7ffffe
	s_delay_alu instid0(SALU_CYCLE_3) | instskip(NEXT) | instid1(SALU_CYCLE_3)
	s_cvt_u32_f32 s2, s2
	s_mul_i32 s6, s6, s2
	s_delay_alu instid0(SALU_CYCLE_1) | instskip(NEXT) | instid1(SALU_CYCLE_1)
	s_mul_hi_u32 s6, s2, s6
	s_add_co_i32 s2, s2, s6
	s_cmp_eq_u32 s5, 0
	s_load_b128 s[4:7], s[0:1], 0x38
	s_cselect_b32 s3, ttmp9, s3
	s_delay_alu instid0(SALU_CYCLE_1) | instskip(NEXT) | instid1(SALU_CYCLE_1)
	s_mul_hi_u32 s2, s3, s2
	s_mul_i32 s12, s2, s24
	s_add_co_i32 s13, s2, 1
	s_sub_co_i32 s12, s3, s12
	s_delay_alu instid0(SALU_CYCLE_1)
	s_sub_co_i32 s14, s12, s24
	s_cmp_ge_u32 s12, s24
	s_cselect_b32 s2, s13, s2
	s_cselect_b32 s12, s14, s12
	s_add_co_i32 s13, s2, 1
	s_cmp_ge_u32 s12, s24
	s_cselect_b32 s19, s13, s2
	s_delay_alu instid0(SALU_CYCLE_1) | instskip(SKIP_4) | instid1(SALU_CYCLE_1)
	s_mul_i32 s15, s19, s24
	s_lshl_b32 s19, s19, 4
	s_sub_co_i32 s2, s3, s15
	v_or_b32_e32 v1, s19, v6
	s_ashr_i32 s3, s2, 31
	s_lshl_b64 s[12:13], s[2:3], 2
	s_load_b64 s[2:3], s[0:1], 0x48
	s_wait_kmcnt 0x0
	s_add_nc_u64 s[6:7], s[6:7], s[12:13]
	v_cmp_gt_i32_e32 vcc_lo, s25, v1
	s_load_b32 s6, s[6:7], 0x0
	s_wait_kmcnt 0x0
	s_ashr_i32 s7, s6, 31
	s_delay_alu instid0(SALU_CYCLE_1) | instskip(NEXT) | instid1(SALU_CYCLE_1)
	s_lshl_b64 s[12:13], s[6:7], 2
	s_add_nc_u64 s[26:27], s[8:9], s[12:13]
	s_load_b96 s[12:14], s[0:1], 0x50
	s_load_b64 s[8:9], s[26:27], 0x0
	s_clause 0x1
	s_load_b96 s[16:18], s[0:1], 0x18
	s_load_b96 s[20:22], s[0:1], 0x28
	s_wait_xcnt 0x0
	v_cmp_eq_u32_e64 s0, 0, v0
	s_wait_kmcnt 0x0
	s_sub_co_i32 s23, s8, s12
	s_cmp_ge_i32 s8, s9
	s_mul_i32 s7, s6, s18
	s_mul_i32 s26, s18, s18
	s_cbranch_scc1 .LBB53_20
; %bb.1:
	v_mad_u32 v2, s18, s23, v7
	v_cmp_gt_i32_e64 s1, s18, v7
	s_sub_co_i32 s27, s9, s12
	v_mov_b32_e32 v9, 0
	s_cmp_lg_u32 s14, 0
	s_mul_i32 s30, s22, s18
	s_cselect_b32 s28, -1, 0
	s_and_b32 s1, vcc_lo, s1
	s_lshl_b32 s31, s18, 4
	v_mul_lo_u32 v8, s18, v2
	s_branch .LBB53_3
.LBB53_2:                               ;   in Loop: Header=BB53_3 Depth=1
                                        ; implicit-def: $vgpr8
	s_cbranch_execnz .LBB53_21
.LBB53_3:                               ; =>This Loop Header: Depth=1
                                        ;     Child Loop BB53_18 Depth 2
                                        ;       Child Loop BB53_19 Depth 3
                                        ;     Child Loop BB53_9 Depth 2
                                        ;       Child Loop BB53_11 Depth 3
	s_wait_xcnt 0x0
	v_mov_b32_e32 v2, s23
	global_load_b32 v2, v2, s[10:11] scale_offset
	s_wait_loadcnt 0x0
	v_readfirstlane_b32 s8, v2
	s_sub_co_i32 s29, s8, s12
	s_delay_alu instid0(SALU_CYCLE_1)
	s_cmp_ge_i32 s29, s6
	s_cbranch_scc1 .LBB53_2
; %bb.4:                                ;   in Loop: Header=BB53_3 Depth=1
	s_wait_xcnt 0x0
	s_and_saveexec_b32 s33, s0
	s_cbranch_execz .LBB53_6
; %bb.5:                                ;   in Loop: Header=BB53_3 Depth=1
	s_add_co_i32 s8, s29, s15
	s_delay_alu instid0(SALU_CYCLE_1)
	v_mov_b32_e32 v2, s8
	global_load_b32 v2, v2, s[4:5] scale_offset scope:SCOPE_DEV
	s_wait_loadcnt 0x0
	v_cmp_ne_u32_e32 vcc_lo, 0, v2
	s_cbranch_vccz .LBB53_16
.LBB53_6:                               ;   in Loop: Header=BB53_3 Depth=1
	s_wait_xcnt 0x0
	s_or_b32 exec_lo, exec_lo, s33
	global_wb scope:SCOPE_DEV
	s_wait_storecnt 0x0
	global_inv scope:SCOPE_DEV
	s_wait_loadcnt 0x0
	s_barrier_signal -1
	s_barrier_wait -1
	s_and_saveexec_b32 s8, s1
	s_cbranch_execz .LBB53_15
; %bb.7:                                ;   in Loop: Header=BB53_3 Depth=1
	v_mad_u32 v10, s30, s29, v1
	v_dual_mov_b32 v11, v8 :: v_dual_mov_b32 v12, v7
	s_mul_i32 s9, s23, s18
	s_mov_b32 s33, 0
	s_branch .LBB53_9
.LBB53_8:                               ;   in Loop: Header=BB53_9 Depth=2
	v_dual_add_nc_u32 v13, s7, v12 :: v_dual_add_nc_u32 v12, 16, v12
	v_add_nc_u32_e32 v11, s31, v11
	s_delay_alu instid0(VALU_DEP_2) | instskip(NEXT) | instid1(VALU_DEP_3)
	v_mad_u32 v13, v13, s22, v1
	v_cmp_le_i32_e32 vcc_lo, s18, v12
	s_or_b32 s33, vcc_lo, s33
	global_load_b128 v[14:17], v13, s[20:21] scale_offset
	s_wait_loadcnt 0x0
	v_add_f64_e64 v[14:15], v[14:15], -v[4:5]
	v_add_f64_e64 v[16:17], v[16:17], -v[2:3]
	global_store_b128 v13, v[14:17], s[20:21] scale_offset
	s_wait_xcnt 0x0
	s_and_not1_b32 exec_lo, exec_lo, s33
	s_cbranch_execz .LBB53_15
.LBB53_9:                               ;   Parent Loop BB53_3 Depth=1
                                        ; =>  This Loop Header: Depth=2
                                        ;       Child Loop BB53_11 Depth 3
	v_mov_b64_e32 v[2:3], 0
	v_mov_b64_e32 v[4:5], 0
	s_delay_alu instid0(VALU_DEP_4)
	v_mov_b32_e32 v13, v10
	s_mov_b32 s34, 0
	s_branch .LBB53_11
.LBB53_10:                              ;   in Loop: Header=BB53_11 Depth=3
	global_load_b128 v[16:19], v14, s[16:17] scale_offset
	global_load_b128 v[20:23], v13, s[20:21] scale_offset
	s_add_co_i32 s34, s34, 1
	s_wait_xcnt 0x0
	v_add_nc_u32_e32 v13, s22, v13
	s_cmp_eq_u32 s18, s34
	s_wait_loadcnt 0x0
	v_fmac_f64_e32 v[4:5], v[16:17], v[20:21]
	v_fmac_f64_e32 v[2:3], v[18:19], v[20:21]
	s_delay_alu instid0(VALU_DEP_2) | instskip(NEXT) | instid1(VALU_DEP_2)
	v_fma_f64 v[4:5], -v[18:19], v[22:23], v[4:5]
	v_fmac_f64_e32 v[2:3], v[16:17], v[22:23]
	s_cbranch_scc1 .LBB53_8
.LBB53_11:                              ;   Parent Loop BB53_3 Depth=1
                                        ;     Parent Loop BB53_9 Depth=2
                                        ; =>    This Inner Loop Header: Depth=3
	s_and_b32 vcc_lo, exec_lo, s28
	s_cbranch_vccz .LBB53_13
; %bb.12:                               ;   in Loop: Header=BB53_11 Depth=3
	s_add_co_i32 s35, s34, s9
	s_delay_alu instid0(SALU_CYCLE_1)
	v_mad_u32 v14, s35, s18, v12
	s_cbranch_execnz .LBB53_10
	s_branch .LBB53_14
.LBB53_13:                              ;   in Loop: Header=BB53_11 Depth=3
                                        ; implicit-def: $vgpr14
.LBB53_14:                              ;   in Loop: Header=BB53_11 Depth=3
	v_add_nc_u32_e32 v14, s34, v11
	s_branch .LBB53_10
.LBB53_15:                              ;   in Loop: Header=BB53_3 Depth=1
	s_or_b32 exec_lo, exec_lo, s8
	s_add_co_i32 s23, s23, 1
	v_add_nc_u32_e32 v8, s26, v8
	s_cmp_ge_i32 s23, s27
	s_cselect_b32 s8, -1, 0
	s_delay_alu instid0(SALU_CYCLE_1)
	s_and_b32 vcc_lo, exec_lo, s8
	s_cbranch_vccz .LBB53_3
	s_branch .LBB53_21
.LBB53_16:                              ;   in Loop: Header=BB53_3 Depth=1
	s_ashr_i32 s9, s8, 31
	s_mov_b32 s34, 0
	s_lshl_b64 s[8:9], s[8:9], 2
	s_delay_alu instid0(SALU_CYCLE_1)
	s_add_nc_u64 s[8:9], s[4:5], s[8:9]
	s_branch .LBB53_18
.LBB53_17:                              ;   in Loop: Header=BB53_18 Depth=2
	global_load_b32 v2, v9, s[8:9] scope:SCOPE_DEV
	s_cmp_lt_u32 s34, 0xf43
	s_cselect_b32 s35, -1, 0
	s_delay_alu instid0(SALU_CYCLE_1)
	s_cmp_lg_u32 s35, 0
	s_add_co_ci_u32 s34, s34, 0
	s_wait_loadcnt 0x0
	v_cmp_ne_u32_e32 vcc_lo, 0, v2
	s_cbranch_vccnz .LBB53_6
.LBB53_18:                              ;   Parent Loop BB53_3 Depth=1
                                        ; =>  This Loop Header: Depth=2
                                        ;       Child Loop BB53_19 Depth 3
	s_cmp_eq_u32 s34, 0
	s_mov_b32 s35, s34
	s_cbranch_scc1 .LBB53_17
.LBB53_19:                              ;   Parent Loop BB53_3 Depth=1
                                        ;     Parent Loop BB53_18 Depth=2
                                        ; =>    This Inner Loop Header: Depth=3
	s_add_co_i32 s35, s35, -1
	s_sleep 1
	s_cmp_eq_u32 s35, 0
	s_cbranch_scc0 .LBB53_19
	s_branch .LBB53_17
.LBB53_20:
	s_mov_b32 s29, s24
.LBB53_21:
	s_cmp_lt_i32 s6, s24
	v_cmp_gt_i32_e32 vcc_lo, s25, v1
	s_cselect_b32 s1, -1, 0
	s_cmp_eq_u32 s6, s29
	s_cselect_b32 s0, -1, 0
	s_delay_alu instid0(SALU_CYCLE_1) | instskip(SKIP_2) | instid1(SALU_CYCLE_1)
	s_and_b32 s0, vcc_lo, s0
	s_cmp_gt_i32 s18, 0
	s_cselect_b32 s8, -1, 0
	s_and_b32 s8, s0, s8
	s_mov_b32 s0, 0
	s_and_b32 s9, s8, s1
	s_wait_xcnt 0x0
	s_and_saveexec_b32 s8, s9
	s_cbranch_execz .LBB53_37
; %bb.22:
	v_dual_add_nc_u32 v2, s7, v7 :: v_dual_add_nc_u32 v12, 1, v7
	s_cmp_eq_u32 s13, 0
	s_mov_b32 s9, 0
	s_cselect_b32 s10, -1, 0
	s_delay_alu instid0(VALU_DEP_1)
	v_mad_u32 v2, s22, v2, s22
	s_cmp_lg_u32 s14, 0
	s_mul_i32 s11, s23, s18
	s_cselect_b32 s13, -1, 0
	s_lshl_b32 s14, s22, 4
	s_mov_b32 s24, 0
	s_delay_alu instid0(VALU_DEP_1)
	v_add3_u32 v13, v6, v2, s19
	s_mul_i32 s19, s23, s26
	s_add_co_i32 s23, s18, 1
	s_branch .LBB53_24
.LBB53_23:                              ;   in Loop: Header=BB53_24 Depth=1
	s_or_b32 exec_lo, exec_lo, s0
	v_add_nc_u32_e32 v13, s22, v13
	s_add_co_i32 s9, s9, 1
	s_add_co_i32 s19, s19, s23
	s_cmp_eq_u32 s9, s18
	s_cbranch_scc1 .LBB53_36
.LBB53_24:                              ; =>This Loop Header: Depth=1
                                        ;     Child Loop BB53_32 Depth 2
	s_and_not1_b32 vcc_lo, exec_lo, s10
	s_cbranch_vccz .LBB53_26
; %bb.25:                               ;   in Loop: Header=BB53_24 Depth=1
	v_mov_b64_e32 v[8:9], 0
	v_mov_b64_e32 v[6:7], 1.0
	s_branch .LBB53_27
.LBB53_26:                              ;   in Loop: Header=BB53_24 Depth=1
	s_add_co_i32 s0, s9, s11
	s_delay_alu instid0(SALU_CYCLE_1) | instskip(NEXT) | instid1(SALU_CYCLE_1)
	s_mul_i32 s0, s0, s18
	s_add_co_i32 s0, s0, s9
	s_wait_loadcnt 0x0
	v_mov_b32_e32 v2, s0
	global_load_b128 v[6:9], v2, s[16:17] scale_offset
.LBB53_27:                              ;   in Loop: Header=BB53_24 Depth=1
	s_add_co_i32 s0, s9, s7
	s_wait_loadcnt 0x0
	s_delay_alu instid0(VALU_DEP_1) | instskip(SKIP_4) | instid1(SALU_CYCLE_1)
	v_cmp_eq_f64_e32 vcc_lo, 0, v[6:7]
	v_mad_u32 v10, s0, s22, v1
	v_cmp_eq_f64_e64 s0, 0, v[8:9]
	global_load_b128 v[2:5], v10, s[20:21] scale_offset
	s_and_b32 s0, vcc_lo, s0
	s_and_b32 vcc_lo, exec_lo, s0
	s_cbranch_vccnz .LBB53_29
; %bb.28:                               ;   in Loop: Header=BB53_24 Depth=1
	v_dual_mul_f64 v[14:15], v[8:9], v[8:9] :: v_dual_ashrrev_i32 v11, 31, v10
	s_wait_xcnt 0x0
	s_delay_alu instid0(VALU_DEP_1) | instskip(NEXT) | instid1(VALU_DEP_2)
	v_lshl_add_u64 v[10:11], v[10:11], 4, s[20:21]
	v_fmac_f64_e32 v[14:15], v[6:7], v[6:7]
	s_delay_alu instid0(VALU_DEP_1) | instskip(SKIP_1) | instid1(VALU_DEP_2)
	v_div_scale_f64 v[16:17], null, v[14:15], v[14:15], 1.0
	v_div_scale_f64 v[22:23], vcc_lo, 1.0, v[14:15], 1.0
	v_rcp_f64_e32 v[18:19], v[16:17]
	v_nop
	s_delay_alu instid0(TRANS32_DEP_1) | instskip(NEXT) | instid1(VALU_DEP_1)
	v_fma_f64 v[20:21], -v[16:17], v[18:19], 1.0
	v_fmac_f64_e32 v[18:19], v[18:19], v[20:21]
	s_delay_alu instid0(VALU_DEP_1) | instskip(NEXT) | instid1(VALU_DEP_1)
	v_fma_f64 v[20:21], -v[16:17], v[18:19], 1.0
	v_fmac_f64_e32 v[18:19], v[18:19], v[20:21]
	s_delay_alu instid0(VALU_DEP_1) | instskip(NEXT) | instid1(VALU_DEP_1)
	v_mul_f64_e32 v[20:21], v[22:23], v[18:19]
	v_fma_f64 v[16:17], -v[16:17], v[20:21], v[22:23]
	s_wait_loadcnt 0x0
	v_mul_f64_e64 v[22:23], v[8:9], -v[2:3]
	s_delay_alu instid0(VALU_DEP_2) | instskip(SKIP_1) | instid1(VALU_DEP_3)
	v_div_fmas_f64 v[16:17], v[16:17], v[18:19], v[20:21]
	v_mul_f64_e32 v[18:19], v[8:9], v[4:5]
	v_fmac_f64_e32 v[22:23], v[4:5], v[6:7]
	s_delay_alu instid0(VALU_DEP_3) | instskip(NEXT) | instid1(VALU_DEP_3)
	v_div_fixup_f64 v[4:5], v[16:17], v[14:15], 1.0
	v_fmac_f64_e32 v[18:19], v[2:3], v[6:7]
	s_delay_alu instid0(VALU_DEP_2) | instskip(NEXT) | instid1(VALU_DEP_2)
	v_mul_f64_e32 v[8:9], v[4:5], v[22:23]
	v_mul_f64_e32 v[6:7], v[4:5], v[18:19]
	s_delay_alu instid0(VALU_DEP_2) | instskip(NEXT) | instid1(VALU_DEP_2)
	v_mov_b64_e32 v[4:5], v[8:9]
	v_mov_b64_e32 v[2:3], v[6:7]
	global_store_b128 v[10:11], v[6:9], off
	s_wait_xcnt 0x0
	v_add_nc_u32_e32 v6, s9, v12
	s_mov_b32 s0, exec_lo
	s_delay_alu instid0(VALU_DEP_1)
	v_cmpx_gt_i32_e64 s18, v6
	s_cbranch_execz .LBB53_23
	s_branch .LBB53_30
.LBB53_29:                              ;   in Loop: Header=BB53_24 Depth=1
	s_mov_b32 s24, -1
	v_add_nc_u32_e32 v6, s9, v12
	s_mov_b32 s0, exec_lo
	s_wait_xcnt 0x0
	s_delay_alu instid0(VALU_DEP_1)
	v_cmpx_gt_i32_e64 s18, v6
	s_cbranch_execz .LBB53_23
.LBB53_30:                              ;   in Loop: Header=BB53_24 Depth=1
	v_dual_mov_b32 v7, v13 :: v_dual_mov_b32 v8, v12
	s_mov_b32 s25, 0
	s_branch .LBB53_32
.LBB53_31:                              ;   in Loop: Header=BB53_32 Depth=2
	global_load_b128 v[14:17], v9, s[16:17] scale_offset
	global_load_b128 v[18:21], v7, s[20:21] scale_offset
	v_dual_add_nc_u32 v6, 16, v6 :: v_dual_add_nc_u32 v8, 16, v8
	s_wait_xcnt 0x1
	s_delay_alu instid0(VALU_DEP_1) | instskip(NEXT) | instid1(VALU_DEP_1)
	v_add_nc_u32_e32 v9, s9, v8
	v_cmp_le_i32_e32 vcc_lo, s18, v9
	s_or_b32 s25, vcc_lo, s25
	s_wait_loadcnt 0x1
	v_mul_f64_e64 v[10:11], v[16:17], -v[4:5]
	v_mul_f64_e32 v[16:17], v[2:3], v[16:17]
	s_delay_alu instid0(VALU_DEP_2) | instskip(NEXT) | instid1(VALU_DEP_2)
	v_fmac_f64_e32 v[10:11], v[2:3], v[14:15]
	v_fmac_f64_e32 v[16:17], v[4:5], v[14:15]
	s_wait_loadcnt 0x0
	s_delay_alu instid0(VALU_DEP_2) | instskip(NEXT) | instid1(VALU_DEP_2)
	v_add_f64_e64 v[14:15], v[18:19], -v[10:11]
	v_add_f64_e64 v[16:17], v[20:21], -v[16:17]
	global_store_b128 v7, v[14:17], s[20:21] scale_offset
	s_wait_xcnt 0x0
	v_add_nc_u32_e32 v7, s14, v7
	s_and_not1_b32 exec_lo, exec_lo, s25
	s_cbranch_execz .LBB53_23
.LBB53_32:                              ;   Parent Loop BB53_24 Depth=1
                                        ; =>  This Inner Loop Header: Depth=2
	s_and_b32 vcc_lo, exec_lo, s13
	s_cbranch_vccz .LBB53_34
; %bb.33:                               ;   in Loop: Header=BB53_32 Depth=2
	v_add_nc_u32_e32 v9, s19, v8
	s_cbranch_execnz .LBB53_31
	s_branch .LBB53_35
.LBB53_34:                              ;   in Loop: Header=BB53_32 Depth=2
                                        ; implicit-def: $vgpr9
.LBB53_35:                              ;   in Loop: Header=BB53_32 Depth=2
	v_add_nc_u32_e32 v9, s11, v6
	s_delay_alu instid0(VALU_DEP_1)
	v_mad_u32 v9, v9, s18, s9
	s_branch .LBB53_31
.LBB53_36:
	s_and_b32 s0, s24, exec_lo
.LBB53_37:
	s_or_b32 exec_lo, exec_lo, s8
	v_cmp_eq_u32_e32 vcc_lo, 0, v0
	global_wb scope:SCOPE_DEV
	s_wait_loadcnt 0x0
	s_wait_storecnt 0x0
	global_inv scope:SCOPE_DEV
	s_wait_loadcnt 0x0
	s_barrier_signal -1
	s_barrier_wait -1
	s_and_b32 s1, vcc_lo, s1
	s_delay_alu instid0(SALU_CYCLE_1)
	s_and_saveexec_b32 s7, s1
	s_cbranch_execz .LBB53_41
; %bb.38:
	s_add_co_i32 s1, s6, s15
	s_delay_alu instid0(SALU_CYCLE_1)
	v_dual_mov_b32 v0, 1 :: v_dual_mov_b32 v1, s1
	global_store_b32 v1, v0, s[4:5] scale_offset scope:SCOPE_DEV
	s_wait_xcnt 0x0
	s_and_b32 exec_lo, exec_lo, s0
	s_cbranch_execz .LBB53_41
; %bb.39:
	v_mbcnt_lo_u32_b32 v0, exec_lo, 0
	s_delay_alu instid0(VALU_DEP_1)
	v_cmp_eq_u32_e32 vcc_lo, 0, v0
	s_and_b32 exec_lo, exec_lo, vcc_lo
	s_cbranch_execz .LBB53_41
; %bb.40:
	s_add_co_i32 s0, s6, s12
	s_delay_alu instid0(SALU_CYCLE_1)
	v_dual_mov_b32 v0, 0 :: v_dual_mov_b32 v1, s0
	global_atomic_min_i32 v0, v1, s[2:3] scope:SCOPE_DEV
.LBB53_41:
	s_endpgm
	.section	.rodata,"a",@progbits
	.p2align	6, 0x0
	.amdhsa_kernel _ZN9rocsparseL24bsrsm_lower_large_kernelILj256ELj16ELb1E21rocsparse_complex_numIdEEEviiPKiS4_PKT2_iPS5_iPiS4_S9_21rocsparse_index_base_20rocsparse_diag_type_20rocsparse_direction_
		.amdhsa_group_segment_fixed_size 0
		.amdhsa_private_segment_fixed_size 0
		.amdhsa_kernarg_size 92
		.amdhsa_user_sgpr_count 2
		.amdhsa_user_sgpr_dispatch_ptr 0
		.amdhsa_user_sgpr_queue_ptr 0
		.amdhsa_user_sgpr_kernarg_segment_ptr 1
		.amdhsa_user_sgpr_dispatch_id 0
		.amdhsa_user_sgpr_kernarg_preload_length 0
		.amdhsa_user_sgpr_kernarg_preload_offset 0
		.amdhsa_user_sgpr_private_segment_size 0
		.amdhsa_wavefront_size32 1
		.amdhsa_uses_dynamic_stack 0
		.amdhsa_enable_private_segment 0
		.amdhsa_system_sgpr_workgroup_id_x 1
		.amdhsa_system_sgpr_workgroup_id_y 0
		.amdhsa_system_sgpr_workgroup_id_z 0
		.amdhsa_system_sgpr_workgroup_info 0
		.amdhsa_system_vgpr_workitem_id 0
		.amdhsa_next_free_vgpr 24
		.amdhsa_next_free_sgpr 36
		.amdhsa_named_barrier_count 0
		.amdhsa_reserve_vcc 1
		.amdhsa_float_round_mode_32 0
		.amdhsa_float_round_mode_16_64 0
		.amdhsa_float_denorm_mode_32 3
		.amdhsa_float_denorm_mode_16_64 3
		.amdhsa_fp16_overflow 0
		.amdhsa_memory_ordered 1
		.amdhsa_forward_progress 1
		.amdhsa_inst_pref_size 15
		.amdhsa_round_robin_scheduling 0
		.amdhsa_exception_fp_ieee_invalid_op 0
		.amdhsa_exception_fp_denorm_src 0
		.amdhsa_exception_fp_ieee_div_zero 0
		.amdhsa_exception_fp_ieee_overflow 0
		.amdhsa_exception_fp_ieee_underflow 0
		.amdhsa_exception_fp_ieee_inexact 0
		.amdhsa_exception_int_div_zero 0
	.end_amdhsa_kernel
	.section	.text._ZN9rocsparseL24bsrsm_lower_large_kernelILj256ELj16ELb1E21rocsparse_complex_numIdEEEviiPKiS4_PKT2_iPS5_iPiS4_S9_21rocsparse_index_base_20rocsparse_diag_type_20rocsparse_direction_,"axG",@progbits,_ZN9rocsparseL24bsrsm_lower_large_kernelILj256ELj16ELb1E21rocsparse_complex_numIdEEEviiPKiS4_PKT2_iPS5_iPiS4_S9_21rocsparse_index_base_20rocsparse_diag_type_20rocsparse_direction_,comdat
.Lfunc_end53:
	.size	_ZN9rocsparseL24bsrsm_lower_large_kernelILj256ELj16ELb1E21rocsparse_complex_numIdEEEviiPKiS4_PKT2_iPS5_iPiS4_S9_21rocsparse_index_base_20rocsparse_diag_type_20rocsparse_direction_, .Lfunc_end53-_ZN9rocsparseL24bsrsm_lower_large_kernelILj256ELj16ELb1E21rocsparse_complex_numIdEEEviiPKiS4_PKT2_iPS5_iPiS4_S9_21rocsparse_index_base_20rocsparse_diag_type_20rocsparse_direction_
                                        ; -- End function
	.set _ZN9rocsparseL24bsrsm_lower_large_kernelILj256ELj16ELb1E21rocsparse_complex_numIdEEEviiPKiS4_PKT2_iPS5_iPiS4_S9_21rocsparse_index_base_20rocsparse_diag_type_20rocsparse_direction_.num_vgpr, 24
	.set _ZN9rocsparseL24bsrsm_lower_large_kernelILj256ELj16ELb1E21rocsparse_complex_numIdEEEviiPKiS4_PKT2_iPS5_iPiS4_S9_21rocsparse_index_base_20rocsparse_diag_type_20rocsparse_direction_.num_agpr, 0
	.set _ZN9rocsparseL24bsrsm_lower_large_kernelILj256ELj16ELb1E21rocsparse_complex_numIdEEEviiPKiS4_PKT2_iPS5_iPiS4_S9_21rocsparse_index_base_20rocsparse_diag_type_20rocsparse_direction_.numbered_sgpr, 36
	.set _ZN9rocsparseL24bsrsm_lower_large_kernelILj256ELj16ELb1E21rocsparse_complex_numIdEEEviiPKiS4_PKT2_iPS5_iPiS4_S9_21rocsparse_index_base_20rocsparse_diag_type_20rocsparse_direction_.num_named_barrier, 0
	.set _ZN9rocsparseL24bsrsm_lower_large_kernelILj256ELj16ELb1E21rocsparse_complex_numIdEEEviiPKiS4_PKT2_iPS5_iPiS4_S9_21rocsparse_index_base_20rocsparse_diag_type_20rocsparse_direction_.private_seg_size, 0
	.set _ZN9rocsparseL24bsrsm_lower_large_kernelILj256ELj16ELb1E21rocsparse_complex_numIdEEEviiPKiS4_PKT2_iPS5_iPiS4_S9_21rocsparse_index_base_20rocsparse_diag_type_20rocsparse_direction_.uses_vcc, 1
	.set _ZN9rocsparseL24bsrsm_lower_large_kernelILj256ELj16ELb1E21rocsparse_complex_numIdEEEviiPKiS4_PKT2_iPS5_iPiS4_S9_21rocsparse_index_base_20rocsparse_diag_type_20rocsparse_direction_.uses_flat_scratch, 0
	.set _ZN9rocsparseL24bsrsm_lower_large_kernelILj256ELj16ELb1E21rocsparse_complex_numIdEEEviiPKiS4_PKT2_iPS5_iPiS4_S9_21rocsparse_index_base_20rocsparse_diag_type_20rocsparse_direction_.has_dyn_sized_stack, 0
	.set _ZN9rocsparseL24bsrsm_lower_large_kernelILj256ELj16ELb1E21rocsparse_complex_numIdEEEviiPKiS4_PKT2_iPS5_iPiS4_S9_21rocsparse_index_base_20rocsparse_diag_type_20rocsparse_direction_.has_recursion, 0
	.set _ZN9rocsparseL24bsrsm_lower_large_kernelILj256ELj16ELb1E21rocsparse_complex_numIdEEEviiPKiS4_PKT2_iPS5_iPiS4_S9_21rocsparse_index_base_20rocsparse_diag_type_20rocsparse_direction_.has_indirect_call, 0
	.section	.AMDGPU.csdata,"",@progbits
; Kernel info:
; codeLenInByte = 1836
; TotalNumSgprs: 38
; NumVgprs: 24
; ScratchSize: 0
; MemoryBound: 0
; FloatMode: 240
; IeeeMode: 1
; LDSByteSize: 0 bytes/workgroup (compile time only)
; SGPRBlocks: 0
; VGPRBlocks: 1
; NumSGPRsForWavesPerEU: 38
; NumVGPRsForWavesPerEU: 24
; NamedBarCnt: 0
; Occupancy: 16
; WaveLimiterHint : 1
; COMPUTE_PGM_RSRC2:SCRATCH_EN: 0
; COMPUTE_PGM_RSRC2:USER_SGPR: 2
; COMPUTE_PGM_RSRC2:TRAP_HANDLER: 0
; COMPUTE_PGM_RSRC2:TGID_X_EN: 1
; COMPUTE_PGM_RSRC2:TGID_Y_EN: 0
; COMPUTE_PGM_RSRC2:TGID_Z_EN: 0
; COMPUTE_PGM_RSRC2:TIDIG_COMP_CNT: 0
	.section	.text._ZN9rocsparseL24bsrsm_upper_large_kernelILj64ELj16ELb0E21rocsparse_complex_numIdEEEviiPKiS4_PKT2_iPS5_iPiS4_S9_21rocsparse_index_base_20rocsparse_diag_type_20rocsparse_direction_,"axG",@progbits,_ZN9rocsparseL24bsrsm_upper_large_kernelILj64ELj16ELb0E21rocsparse_complex_numIdEEEviiPKiS4_PKT2_iPS5_iPiS4_S9_21rocsparse_index_base_20rocsparse_diag_type_20rocsparse_direction_,comdat
	.globl	_ZN9rocsparseL24bsrsm_upper_large_kernelILj64ELj16ELb0E21rocsparse_complex_numIdEEEviiPKiS4_PKT2_iPS5_iPiS4_S9_21rocsparse_index_base_20rocsparse_diag_type_20rocsparse_direction_ ; -- Begin function _ZN9rocsparseL24bsrsm_upper_large_kernelILj64ELj16ELb0E21rocsparse_complex_numIdEEEviiPKiS4_PKT2_iPS5_iPiS4_S9_21rocsparse_index_base_20rocsparse_diag_type_20rocsparse_direction_
	.p2align	8
	.type	_ZN9rocsparseL24bsrsm_upper_large_kernelILj64ELj16ELb0E21rocsparse_complex_numIdEEEviiPKiS4_PKT2_iPS5_iPiS4_S9_21rocsparse_index_base_20rocsparse_diag_type_20rocsparse_direction_,@function
_ZN9rocsparseL24bsrsm_upper_large_kernelILj64ELj16ELb0E21rocsparse_complex_numIdEEEviiPKiS4_PKT2_iPS5_iPiS4_S9_21rocsparse_index_base_20rocsparse_diag_type_20rocsparse_direction_: ; @_ZN9rocsparseL24bsrsm_upper_large_kernelILj64ELj16ELb0E21rocsparse_complex_numIdEEEviiPKiS4_PKT2_iPS5_iPiS4_S9_21rocsparse_index_base_20rocsparse_diag_type_20rocsparse_direction_
; %bb.0:
	s_clause 0x1
	s_load_b64 s[24:25], s[0:1], 0x0
	s_load_b128 s[8:11], s[0:1], 0x8
	s_bfe_u32 s4, ttmp6, 0x4000c
	s_and_b32 s3, ttmp6, 15
	s_add_co_i32 s4, s4, 1
	s_getreg_b32 s5, hwreg(HW_REG_IB_STS2, 6, 4)
	s_mul_i32 s4, ttmp9, s4
	v_dual_lshrrev_b32 v6, 2, v0 :: v_dual_bitop2_b32 v12, 3, v0 bitop3:0x40
	s_add_co_i32 s3, s3, s4
	s_wait_kmcnt 0x0
	s_cvt_f32_u32 s2, s24
	s_sub_co_i32 s6, 0, s24
	s_delay_alu instid0(SALU_CYCLE_2) | instskip(SKIP_1) | instid1(TRANS32_DEP_1)
	v_rcp_iflag_f32_e32 v1, s2
	v_nop
	v_readfirstlane_b32 s2, v1
	s_mul_f32 s2, s2, 0x4f7ffffe
	s_delay_alu instid0(SALU_CYCLE_3) | instskip(NEXT) | instid1(SALU_CYCLE_3)
	s_cvt_u32_f32 s2, s2
	s_mul_i32 s6, s6, s2
	s_delay_alu instid0(SALU_CYCLE_1) | instskip(NEXT) | instid1(SALU_CYCLE_1)
	s_mul_hi_u32 s6, s2, s6
	s_add_co_i32 s2, s2, s6
	s_cmp_eq_u32 s5, 0
	s_load_b128 s[4:7], s[0:1], 0x38
	s_cselect_b32 s3, ttmp9, s3
	s_delay_alu instid0(SALU_CYCLE_1) | instskip(NEXT) | instid1(SALU_CYCLE_1)
	s_mul_hi_u32 s2, s3, s2
	s_mul_i32 s12, s2, s24
	s_add_co_i32 s13, s2, 1
	s_sub_co_i32 s12, s3, s12
	s_delay_alu instid0(SALU_CYCLE_1)
	s_sub_co_i32 s14, s12, s24
	s_cmp_ge_u32 s12, s24
	s_cselect_b32 s2, s13, s2
	s_cselect_b32 s12, s14, s12
	s_add_co_i32 s13, s2, 1
	s_cmp_ge_u32 s12, s24
	s_cselect_b32 s19, s13, s2
	s_delay_alu instid0(SALU_CYCLE_1) | instskip(SKIP_4) | instid1(SALU_CYCLE_1)
	s_mul_i32 s15, s19, s24
	s_lshl_b32 s19, s19, 4
	s_sub_co_i32 s2, s3, s15
	v_or_b32_e32 v1, s19, v6
	s_ashr_i32 s3, s2, 31
	s_lshl_b64 s[12:13], s[2:3], 2
	s_load_b64 s[2:3], s[0:1], 0x48
	s_wait_kmcnt 0x0
	s_add_nc_u64 s[6:7], s[6:7], s[12:13]
	s_load_b96 s[12:14], s[0:1], 0x50
	v_cmp_gt_i32_e32 vcc_lo, s25, v1
	s_load_b32 s6, s[6:7], 0x0
	s_wait_kmcnt 0x0
	s_ashr_i32 s7, s6, 31
	s_delay_alu instid0(SALU_CYCLE_1) | instskip(NEXT) | instid1(SALU_CYCLE_1)
	s_lshl_b64 s[16:17], s[6:7], 2
	s_add_nc_u64 s[8:9], s[8:9], s[16:17]
	s_load_b64 s[26:27], s[8:9], 0x0
	s_clause 0x1
	s_load_b96 s[16:18], s[0:1], 0x18
	s_load_b96 s[20:22], s[0:1], 0x28
	s_wait_xcnt 0x0
	s_not_b32 s0, s12
	s_wait_kmcnt 0x0
	s_add_co_i32 s23, s27, s0
	v_cmp_eq_u32_e64 s0, 0, v0
	s_sub_co_i32 s26, s26, s12
	s_mul_i32 s7, s6, s18
	s_cmp_lt_i32 s23, s26
	s_cbranch_scc1 .LBB54_18
; %bb.1:
	v_mad_u32 v2, s18, s23, v12
	v_cmp_gt_i32_e64 s1, s18, v12
	v_mov_b32_e32 v8, 0
	s_cmp_lg_u32 s14, 0
	s_mul_i32 s29, s22, s18
	s_cselect_b32 s27, -1, 0
	s_and_b32 s1, vcc_lo, s1
	s_mul_i32 s30, s18, s18
	s_lshl_b32 s31, s18, 2
	v_mul_lo_u32 v7, s18, v2
	s_branch .LBB54_3
.LBB54_2:                               ;   in Loop: Header=BB54_3 Depth=1
                                        ; implicit-def: $vgpr7
	s_cbranch_execnz .LBB54_19
.LBB54_3:                               ; =>This Loop Header: Depth=1
                                        ;     Child Loop BB54_7 Depth 2
                                        ;     Child Loop BB54_11 Depth 2
                                        ;       Child Loop BB54_13 Depth 3
	s_wait_xcnt 0x0
	v_mov_b32_e32 v2, s23
	global_load_b32 v2, v2, s[10:11] scale_offset
	s_wait_loadcnt 0x0
	v_readfirstlane_b32 s8, v2
	s_sub_co_i32 s28, s8, s12
	s_delay_alu instid0(SALU_CYCLE_1)
	s_cmp_le_i32 s28, s6
	s_cbranch_scc1 .LBB54_2
; %bb.4:                                ;   in Loop: Header=BB54_3 Depth=1
	s_wait_xcnt 0x0
	s_and_saveexec_b32 s33, s0
	s_cbranch_execz .LBB54_8
; %bb.5:                                ;   in Loop: Header=BB54_3 Depth=1
	s_add_co_i32 s8, s28, s15
	s_delay_alu instid0(SALU_CYCLE_1)
	v_mov_b32_e32 v2, s8
	global_load_b32 v2, v2, s[4:5] scale_offset scope:SCOPE_DEV
	s_wait_loadcnt 0x0
	v_cmp_ne_u32_e32 vcc_lo, 0, v2
	s_cbranch_vccnz .LBB54_8
; %bb.6:                                ;   in Loop: Header=BB54_3 Depth=1
	s_ashr_i32 s9, s8, 31
	s_delay_alu instid0(SALU_CYCLE_1) | instskip(NEXT) | instid1(SALU_CYCLE_1)
	s_lshl_b64 s[8:9], s[8:9], 2
	s_add_nc_u64 s[8:9], s[4:5], s[8:9]
.LBB54_7:                               ;   Parent Loop BB54_3 Depth=1
                                        ; =>  This Inner Loop Header: Depth=2
	global_load_b32 v2, v8, s[8:9] scope:SCOPE_DEV
	s_wait_loadcnt 0x0
	v_cmp_eq_u32_e32 vcc_lo, 0, v2
	s_cbranch_vccnz .LBB54_7
.LBB54_8:                               ;   in Loop: Header=BB54_3 Depth=1
	s_wait_xcnt 0x0
	s_or_b32 exec_lo, exec_lo, s33
	global_wb scope:SCOPE_DEV
	s_wait_storecnt 0x0
	global_inv scope:SCOPE_DEV
	s_wait_loadcnt 0x0
	s_barrier_signal -1
	s_barrier_wait -1
	s_and_saveexec_b32 s8, s1
	s_cbranch_execz .LBB54_17
; %bb.9:                                ;   in Loop: Header=BB54_3 Depth=1
	v_mad_u32 v9, s29, s28, v1
	v_dual_mov_b32 v10, v7 :: v_dual_mov_b32 v11, v12
	s_mul_i32 s9, s23, s18
	s_mov_b32 s33, 0
	s_branch .LBB54_11
.LBB54_10:                              ;   in Loop: Header=BB54_11 Depth=2
	v_dual_add_nc_u32 v13, s7, v11 :: v_dual_add_nc_u32 v11, 4, v11
	v_add_nc_u32_e32 v10, s31, v10
	s_delay_alu instid0(VALU_DEP_2) | instskip(NEXT) | instid1(VALU_DEP_3)
	v_mad_u32 v13, v13, s22, v1
	v_cmp_le_i32_e32 vcc_lo, s18, v11
	s_or_b32 s33, vcc_lo, s33
	global_load_b128 v[14:17], v13, s[20:21] scale_offset
	s_wait_loadcnt 0x0
	v_add_f64_e64 v[14:15], v[14:15], -v[4:5]
	v_add_f64_e64 v[16:17], v[16:17], -v[2:3]
	global_store_b128 v13, v[14:17], s[20:21] scale_offset
	s_wait_xcnt 0x0
	s_and_not1_b32 exec_lo, exec_lo, s33
	s_cbranch_execz .LBB54_17
.LBB54_11:                              ;   Parent Loop BB54_3 Depth=1
                                        ; =>  This Loop Header: Depth=2
                                        ;       Child Loop BB54_13 Depth 3
	v_mov_b64_e32 v[2:3], 0
	v_mov_b64_e32 v[4:5], 0
	s_delay_alu instid0(VALU_DEP_4)
	v_mov_b32_e32 v13, v9
	s_mov_b32 s34, 0
	s_branch .LBB54_13
.LBB54_12:                              ;   in Loop: Header=BB54_13 Depth=3
	global_load_b128 v[16:19], v14, s[16:17] scale_offset
	global_load_b128 v[20:23], v13, s[20:21] scale_offset
	s_add_co_i32 s34, s34, 1
	s_wait_xcnt 0x0
	v_add_nc_u32_e32 v13, s22, v13
	s_cmp_eq_u32 s18, s34
	s_wait_loadcnt 0x0
	v_fmac_f64_e32 v[4:5], v[16:17], v[20:21]
	v_fmac_f64_e32 v[2:3], v[18:19], v[20:21]
	s_delay_alu instid0(VALU_DEP_2) | instskip(NEXT) | instid1(VALU_DEP_2)
	v_fma_f64 v[4:5], -v[18:19], v[22:23], v[4:5]
	v_fmac_f64_e32 v[2:3], v[16:17], v[22:23]
	s_cbranch_scc1 .LBB54_10
.LBB54_13:                              ;   Parent Loop BB54_3 Depth=1
                                        ;     Parent Loop BB54_11 Depth=2
                                        ; =>    This Inner Loop Header: Depth=3
	s_and_b32 vcc_lo, exec_lo, s27
	s_cbranch_vccz .LBB54_15
; %bb.14:                               ;   in Loop: Header=BB54_13 Depth=3
	s_add_co_i32 s35, s34, s9
	s_delay_alu instid0(SALU_CYCLE_1)
	v_mad_u32 v14, s35, s18, v11
	s_cbranch_execnz .LBB54_12
	s_branch .LBB54_16
.LBB54_15:                              ;   in Loop: Header=BB54_13 Depth=3
                                        ; implicit-def: $vgpr14
.LBB54_16:                              ;   in Loop: Header=BB54_13 Depth=3
	v_add_nc_u32_e32 v14, s34, v10
	s_branch .LBB54_12
.LBB54_17:                              ;   in Loop: Header=BB54_3 Depth=1
	s_or_b32 exec_lo, exec_lo, s8
	s_add_co_i32 s9, s23, -1
	s_cmp_le_i32 s23, s26
	v_subrev_nc_u32_e32 v7, s30, v7
	s_cselect_b32 s8, -1, 0
	s_mov_b32 s23, s9
	s_and_b32 vcc_lo, exec_lo, s8
	s_cbranch_vccz .LBB54_3
	s_branch .LBB54_19
.LBB54_18:
	s_mov_b32 s28, s24
.LBB54_19:
	s_cmp_lt_i32 s6, s24
	v_cmp_gt_i32_e32 vcc_lo, s25, v1
	s_cselect_b32 s1, -1, 0
	s_cmp_eq_u32 s6, s28
	s_cselect_b32 s0, -1, 0
	s_delay_alu instid0(SALU_CYCLE_1) | instskip(SKIP_2) | instid1(SALU_CYCLE_1)
	s_and_b32 s0, vcc_lo, s0
	s_cmp_gt_i32 s18, 0
	s_cselect_b32 s8, -1, 0
	s_and_b32 s8, s0, s8
	s_mov_b32 s0, 0
	s_and_b32 s9, s8, s1
	s_wait_xcnt 0x0
	s_and_saveexec_b32 s8, s9
	s_cbranch_execz .LBB54_36
; %bb.20:
	v_add_nc_u32_e32 v2, s7, v12
	s_cmp_eq_u32 s13, 0
	s_mov_b32 s13, 0
	s_cselect_b32 s9, -1, 0
	s_cmp_lg_u32 s14, 0
	v_mul_lo_u32 v2, s22, v2
	s_cselect_b32 s10, -1, 0
	s_add_co_i32 s0, s23, 1
	s_mul_i32 s11, s23, s18
	s_mul_i32 s0, s18, s0
	s_lshl_b32 s14, s22, 2
	s_add_co_i32 s0, s0, -1
	s_mov_b32 s23, s18
	s_delay_alu instid0(VALU_DEP_1)
	v_add3_u32 v13, v6, v2, s19
	s_mul_i32 s19, s18, s0
	s_and_not1_b32 vcc_lo, exec_lo, s9
	s_add_co_i32 s24, s23, -1
	s_cbranch_vccz .LBB54_22
.LBB54_21:
	v_mov_b64_e32 v[8:9], 0
	v_mov_b64_e32 v[6:7], 1.0
	s_branch .LBB54_23
.LBB54_22:
	s_add_co_i32 s0, s24, s11
	s_delay_alu instid0(SALU_CYCLE_1) | instskip(NEXT) | instid1(SALU_CYCLE_1)
	s_mul_i32 s0, s0, s18
	s_add_co_i32 s0, s0, s24
	s_wait_loadcnt 0x0
	v_mov_b32_e32 v2, s0
	global_load_b128 v[6:9], v2, s[16:17] scale_offset
.LBB54_23:
	s_add_co_i32 s0, s24, s7
	s_wait_loadcnt 0x0
	s_delay_alu instid0(VALU_DEP_1) | instskip(SKIP_4) | instid1(SALU_CYCLE_1)
	v_cmp_eq_f64_e32 vcc_lo, 0, v[6:7]
	v_mad_u32 v10, s0, s22, v1
	v_cmp_eq_f64_e64 s0, 0, v[8:9]
	global_load_b128 v[2:5], v10, s[20:21] scale_offset
	s_and_b32 s0, vcc_lo, s0
	s_and_b32 vcc_lo, exec_lo, s0
	s_cbranch_vccnz .LBB54_25
; %bb.24:
	v_dual_mul_f64 v[14:15], v[8:9], v[8:9] :: v_dual_ashrrev_i32 v11, 31, v10
	s_wait_xcnt 0x0
	s_delay_alu instid0(VALU_DEP_1) | instskip(NEXT) | instid1(VALU_DEP_2)
	v_lshl_add_u64 v[10:11], v[10:11], 4, s[20:21]
	v_fmac_f64_e32 v[14:15], v[6:7], v[6:7]
	s_delay_alu instid0(VALU_DEP_1) | instskip(SKIP_1) | instid1(VALU_DEP_2)
	v_div_scale_f64 v[16:17], null, v[14:15], v[14:15], 1.0
	v_div_scale_f64 v[22:23], vcc_lo, 1.0, v[14:15], 1.0
	v_rcp_f64_e32 v[18:19], v[16:17]
	v_nop
	s_delay_alu instid0(TRANS32_DEP_1) | instskip(NEXT) | instid1(VALU_DEP_1)
	v_fma_f64 v[20:21], -v[16:17], v[18:19], 1.0
	v_fmac_f64_e32 v[18:19], v[18:19], v[20:21]
	s_delay_alu instid0(VALU_DEP_1) | instskip(NEXT) | instid1(VALU_DEP_1)
	v_fma_f64 v[20:21], -v[16:17], v[18:19], 1.0
	v_fmac_f64_e32 v[18:19], v[18:19], v[20:21]
	s_delay_alu instid0(VALU_DEP_1) | instskip(NEXT) | instid1(VALU_DEP_1)
	v_mul_f64_e32 v[20:21], v[22:23], v[18:19]
	v_fma_f64 v[16:17], -v[16:17], v[20:21], v[22:23]
	s_wait_loadcnt 0x0
	v_mul_f64_e64 v[22:23], v[8:9], -v[2:3]
	s_delay_alu instid0(VALU_DEP_2) | instskip(SKIP_1) | instid1(VALU_DEP_3)
	v_div_fmas_f64 v[16:17], v[16:17], v[18:19], v[20:21]
	v_mul_f64_e32 v[18:19], v[8:9], v[4:5]
	v_fmac_f64_e32 v[22:23], v[4:5], v[6:7]
	s_delay_alu instid0(VALU_DEP_3) | instskip(NEXT) | instid1(VALU_DEP_3)
	v_div_fixup_f64 v[4:5], v[16:17], v[14:15], 1.0
	v_fmac_f64_e32 v[18:19], v[2:3], v[6:7]
	s_delay_alu instid0(VALU_DEP_2) | instskip(NEXT) | instid1(VALU_DEP_2)
	v_mul_f64_e32 v[8:9], v[4:5], v[22:23]
	v_mul_f64_e32 v[6:7], v[4:5], v[18:19]
	s_delay_alu instid0(VALU_DEP_2) | instskip(NEXT) | instid1(VALU_DEP_2)
	v_mov_b64_e32 v[4:5], v[8:9]
	v_mov_b64_e32 v[2:3], v[6:7]
	global_store_b128 v[10:11], v[6:9], off
	s_mov_b32 s0, exec_lo
	s_wait_xcnt 0x0
	v_cmpx_gt_i32_e64 s24, v12
	s_cbranch_execnz .LBB54_26
	s_branch .LBB54_32
.LBB54_25:
	s_mov_b32 s13, -1
	s_mov_b32 s0, exec_lo
	s_wait_xcnt 0x0
	v_cmpx_gt_i32_e64 s24, v12
	s_cbranch_execz .LBB54_32
.LBB54_26:
	v_dual_mov_b32 v6, v13 :: v_dual_mov_b32 v7, v12
	s_mov_b32 s25, 0
	s_branch .LBB54_28
.LBB54_27:                              ;   in Loop: Header=BB54_28 Depth=1
	global_load_b128 v[14:17], v8, s[16:17] scale_offset
	global_load_b128 v[18:21], v6, s[20:21] scale_offset
	v_add_nc_u32_e32 v7, 4, v7
	s_delay_alu instid0(VALU_DEP_1)
	v_cmp_le_i32_e32 vcc_lo, s24, v7
	s_or_b32 s25, vcc_lo, s25
	s_wait_loadcnt 0x1
	s_wait_xcnt 0x1
	v_mul_f64_e64 v[8:9], v[16:17], -v[4:5]
	v_mul_f64_e32 v[10:11], v[2:3], v[16:17]
	s_delay_alu instid0(VALU_DEP_2) | instskip(NEXT) | instid1(VALU_DEP_2)
	v_fmac_f64_e32 v[8:9], v[2:3], v[14:15]
	v_fmac_f64_e32 v[10:11], v[4:5], v[14:15]
	s_wait_loadcnt 0x0
	s_delay_alu instid0(VALU_DEP_2) | instskip(NEXT) | instid1(VALU_DEP_2)
	v_add_f64_e64 v[8:9], v[18:19], -v[8:9]
	v_add_f64_e64 v[10:11], v[20:21], -v[10:11]
	global_store_b128 v6, v[8:11], s[20:21] scale_offset
	s_wait_xcnt 0x0
	v_add_nc_u32_e32 v6, s14, v6
	s_and_not1_b32 exec_lo, exec_lo, s25
	s_cbranch_execz .LBB54_32
.LBB54_28:                              ; =>This Inner Loop Header: Depth=1
	s_and_b32 vcc_lo, exec_lo, s10
	s_cbranch_vccz .LBB54_30
; %bb.29:                               ;   in Loop: Header=BB54_28 Depth=1
	v_add_nc_u32_e32 v8, s19, v7
	s_cbranch_execnz .LBB54_27
	s_branch .LBB54_31
.LBB54_30:                              ;   in Loop: Header=BB54_28 Depth=1
                                        ; implicit-def: $vgpr8
.LBB54_31:                              ;   in Loop: Header=BB54_28 Depth=1
	v_add_nc_u32_e32 v8, s11, v7
	s_delay_alu instid0(VALU_DEP_1)
	v_mad_u32 v8, v8, s18, s24
	s_branch .LBB54_27
.LBB54_32:
	s_or_b32 exec_lo, exec_lo, s0
; %bb.33:
	s_sub_co_i32 s19, s19, s18
	s_cmp_lt_i32 s23, 2
	s_cbranch_scc1 .LBB54_35
; %bb.34:
	s_mov_b32 s23, s24
	s_and_not1_b32 vcc_lo, exec_lo, s9
	s_add_co_i32 s24, s23, -1
	s_cbranch_vccnz .LBB54_21
	s_branch .LBB54_22
.LBB54_35:
	s_and_b32 s0, s13, exec_lo
.LBB54_36:
	s_or_b32 exec_lo, exec_lo, s8
	v_cmp_eq_u32_e32 vcc_lo, 0, v0
	global_wb scope:SCOPE_DEV
	s_wait_loadcnt 0x0
	s_wait_storecnt 0x0
	global_inv scope:SCOPE_DEV
	s_wait_loadcnt 0x0
	s_barrier_signal -1
	s_barrier_wait -1
	s_and_b32 s1, vcc_lo, s1
	s_delay_alu instid0(SALU_CYCLE_1)
	s_and_saveexec_b32 s7, s1
	s_cbranch_execz .LBB54_40
; %bb.37:
	s_add_co_i32 s1, s6, s15
	s_delay_alu instid0(SALU_CYCLE_1)
	v_dual_mov_b32 v0, 1 :: v_dual_mov_b32 v1, s1
	global_store_b32 v1, v0, s[4:5] scale_offset scope:SCOPE_DEV
	s_wait_xcnt 0x0
	s_and_b32 exec_lo, exec_lo, s0
	s_cbranch_execz .LBB54_40
; %bb.38:
	v_mbcnt_lo_u32_b32 v0, exec_lo, 0
	s_delay_alu instid0(VALU_DEP_1)
	v_cmp_eq_u32_e32 vcc_lo, 0, v0
	s_and_b32 exec_lo, exec_lo, vcc_lo
	s_cbranch_execz .LBB54_40
; %bb.39:
	s_add_co_i32 s0, s6, s12
	s_delay_alu instid0(SALU_CYCLE_1)
	v_dual_mov_b32 v0, 0 :: v_dual_mov_b32 v1, s0
	global_atomic_min_i32 v0, v1, s[2:3] scope:SCOPE_DEV
.LBB54_40:
	s_endpgm
	.section	.rodata,"a",@progbits
	.p2align	6, 0x0
	.amdhsa_kernel _ZN9rocsparseL24bsrsm_upper_large_kernelILj64ELj16ELb0E21rocsparse_complex_numIdEEEviiPKiS4_PKT2_iPS5_iPiS4_S9_21rocsparse_index_base_20rocsparse_diag_type_20rocsparse_direction_
		.amdhsa_group_segment_fixed_size 0
		.amdhsa_private_segment_fixed_size 0
		.amdhsa_kernarg_size 92
		.amdhsa_user_sgpr_count 2
		.amdhsa_user_sgpr_dispatch_ptr 0
		.amdhsa_user_sgpr_queue_ptr 0
		.amdhsa_user_sgpr_kernarg_segment_ptr 1
		.amdhsa_user_sgpr_dispatch_id 0
		.amdhsa_user_sgpr_kernarg_preload_length 0
		.amdhsa_user_sgpr_kernarg_preload_offset 0
		.amdhsa_user_sgpr_private_segment_size 0
		.amdhsa_wavefront_size32 1
		.amdhsa_uses_dynamic_stack 0
		.amdhsa_enable_private_segment 0
		.amdhsa_system_sgpr_workgroup_id_x 1
		.amdhsa_system_sgpr_workgroup_id_y 0
		.amdhsa_system_sgpr_workgroup_id_z 0
		.amdhsa_system_sgpr_workgroup_info 0
		.amdhsa_system_vgpr_workitem_id 0
		.amdhsa_next_free_vgpr 24
		.amdhsa_next_free_sgpr 36
		.amdhsa_named_barrier_count 0
		.amdhsa_reserve_vcc 1
		.amdhsa_float_round_mode_32 0
		.amdhsa_float_round_mode_16_64 0
		.amdhsa_float_denorm_mode_32 3
		.amdhsa_float_denorm_mode_16_64 3
		.amdhsa_fp16_overflow 0
		.amdhsa_memory_ordered 1
		.amdhsa_forward_progress 1
		.amdhsa_inst_pref_size 14
		.amdhsa_round_robin_scheduling 0
		.amdhsa_exception_fp_ieee_invalid_op 0
		.amdhsa_exception_fp_denorm_src 0
		.amdhsa_exception_fp_ieee_div_zero 0
		.amdhsa_exception_fp_ieee_overflow 0
		.amdhsa_exception_fp_ieee_underflow 0
		.amdhsa_exception_fp_ieee_inexact 0
		.amdhsa_exception_int_div_zero 0
	.end_amdhsa_kernel
	.section	.text._ZN9rocsparseL24bsrsm_upper_large_kernelILj64ELj16ELb0E21rocsparse_complex_numIdEEEviiPKiS4_PKT2_iPS5_iPiS4_S9_21rocsparse_index_base_20rocsparse_diag_type_20rocsparse_direction_,"axG",@progbits,_ZN9rocsparseL24bsrsm_upper_large_kernelILj64ELj16ELb0E21rocsparse_complex_numIdEEEviiPKiS4_PKT2_iPS5_iPiS4_S9_21rocsparse_index_base_20rocsparse_diag_type_20rocsparse_direction_,comdat
.Lfunc_end54:
	.size	_ZN9rocsparseL24bsrsm_upper_large_kernelILj64ELj16ELb0E21rocsparse_complex_numIdEEEviiPKiS4_PKT2_iPS5_iPiS4_S9_21rocsparse_index_base_20rocsparse_diag_type_20rocsparse_direction_, .Lfunc_end54-_ZN9rocsparseL24bsrsm_upper_large_kernelILj64ELj16ELb0E21rocsparse_complex_numIdEEEviiPKiS4_PKT2_iPS5_iPiS4_S9_21rocsparse_index_base_20rocsparse_diag_type_20rocsparse_direction_
                                        ; -- End function
	.set _ZN9rocsparseL24bsrsm_upper_large_kernelILj64ELj16ELb0E21rocsparse_complex_numIdEEEviiPKiS4_PKT2_iPS5_iPiS4_S9_21rocsparse_index_base_20rocsparse_diag_type_20rocsparse_direction_.num_vgpr, 24
	.set _ZN9rocsparseL24bsrsm_upper_large_kernelILj64ELj16ELb0E21rocsparse_complex_numIdEEEviiPKiS4_PKT2_iPS5_iPiS4_S9_21rocsparse_index_base_20rocsparse_diag_type_20rocsparse_direction_.num_agpr, 0
	.set _ZN9rocsparseL24bsrsm_upper_large_kernelILj64ELj16ELb0E21rocsparse_complex_numIdEEEviiPKiS4_PKT2_iPS5_iPiS4_S9_21rocsparse_index_base_20rocsparse_diag_type_20rocsparse_direction_.numbered_sgpr, 36
	.set _ZN9rocsparseL24bsrsm_upper_large_kernelILj64ELj16ELb0E21rocsparse_complex_numIdEEEviiPKiS4_PKT2_iPS5_iPiS4_S9_21rocsparse_index_base_20rocsparse_diag_type_20rocsparse_direction_.num_named_barrier, 0
	.set _ZN9rocsparseL24bsrsm_upper_large_kernelILj64ELj16ELb0E21rocsparse_complex_numIdEEEviiPKiS4_PKT2_iPS5_iPiS4_S9_21rocsparse_index_base_20rocsparse_diag_type_20rocsparse_direction_.private_seg_size, 0
	.set _ZN9rocsparseL24bsrsm_upper_large_kernelILj64ELj16ELb0E21rocsparse_complex_numIdEEEviiPKiS4_PKT2_iPS5_iPiS4_S9_21rocsparse_index_base_20rocsparse_diag_type_20rocsparse_direction_.uses_vcc, 1
	.set _ZN9rocsparseL24bsrsm_upper_large_kernelILj64ELj16ELb0E21rocsparse_complex_numIdEEEviiPKiS4_PKT2_iPS5_iPiS4_S9_21rocsparse_index_base_20rocsparse_diag_type_20rocsparse_direction_.uses_flat_scratch, 0
	.set _ZN9rocsparseL24bsrsm_upper_large_kernelILj64ELj16ELb0E21rocsparse_complex_numIdEEEviiPKiS4_PKT2_iPS5_iPiS4_S9_21rocsparse_index_base_20rocsparse_diag_type_20rocsparse_direction_.has_dyn_sized_stack, 0
	.set _ZN9rocsparseL24bsrsm_upper_large_kernelILj64ELj16ELb0E21rocsparse_complex_numIdEEEviiPKiS4_PKT2_iPS5_iPiS4_S9_21rocsparse_index_base_20rocsparse_diag_type_20rocsparse_direction_.has_recursion, 0
	.set _ZN9rocsparseL24bsrsm_upper_large_kernelILj64ELj16ELb0E21rocsparse_complex_numIdEEEviiPKiS4_PKT2_iPS5_iPiS4_S9_21rocsparse_index_base_20rocsparse_diag_type_20rocsparse_direction_.has_indirect_call, 0
	.section	.AMDGPU.csdata,"",@progbits
; Kernel info:
; codeLenInByte = 1756
; TotalNumSgprs: 38
; NumVgprs: 24
; ScratchSize: 0
; MemoryBound: 0
; FloatMode: 240
; IeeeMode: 1
; LDSByteSize: 0 bytes/workgroup (compile time only)
; SGPRBlocks: 0
; VGPRBlocks: 1
; NumSGPRsForWavesPerEU: 38
; NumVGPRsForWavesPerEU: 24
; NamedBarCnt: 0
; Occupancy: 16
; WaveLimiterHint : 1
; COMPUTE_PGM_RSRC2:SCRATCH_EN: 0
; COMPUTE_PGM_RSRC2:USER_SGPR: 2
; COMPUTE_PGM_RSRC2:TRAP_HANDLER: 0
; COMPUTE_PGM_RSRC2:TGID_X_EN: 1
; COMPUTE_PGM_RSRC2:TGID_Y_EN: 0
; COMPUTE_PGM_RSRC2:TGID_Z_EN: 0
; COMPUTE_PGM_RSRC2:TIDIG_COMP_CNT: 0
	.section	.text._ZN9rocsparseL24bsrsm_lower_large_kernelILj64ELj16ELb0E21rocsparse_complex_numIdEEEviiPKiS4_PKT2_iPS5_iPiS4_S9_21rocsparse_index_base_20rocsparse_diag_type_20rocsparse_direction_,"axG",@progbits,_ZN9rocsparseL24bsrsm_lower_large_kernelILj64ELj16ELb0E21rocsparse_complex_numIdEEEviiPKiS4_PKT2_iPS5_iPiS4_S9_21rocsparse_index_base_20rocsparse_diag_type_20rocsparse_direction_,comdat
	.globl	_ZN9rocsparseL24bsrsm_lower_large_kernelILj64ELj16ELb0E21rocsparse_complex_numIdEEEviiPKiS4_PKT2_iPS5_iPiS4_S9_21rocsparse_index_base_20rocsparse_diag_type_20rocsparse_direction_ ; -- Begin function _ZN9rocsparseL24bsrsm_lower_large_kernelILj64ELj16ELb0E21rocsparse_complex_numIdEEEviiPKiS4_PKT2_iPS5_iPiS4_S9_21rocsparse_index_base_20rocsparse_diag_type_20rocsparse_direction_
	.p2align	8
	.type	_ZN9rocsparseL24bsrsm_lower_large_kernelILj64ELj16ELb0E21rocsparse_complex_numIdEEEviiPKiS4_PKT2_iPS5_iPiS4_S9_21rocsparse_index_base_20rocsparse_diag_type_20rocsparse_direction_,@function
_ZN9rocsparseL24bsrsm_lower_large_kernelILj64ELj16ELb0E21rocsparse_complex_numIdEEEviiPKiS4_PKT2_iPS5_iPiS4_S9_21rocsparse_index_base_20rocsparse_diag_type_20rocsparse_direction_: ; @_ZN9rocsparseL24bsrsm_lower_large_kernelILj64ELj16ELb0E21rocsparse_complex_numIdEEEviiPKiS4_PKT2_iPS5_iPiS4_S9_21rocsparse_index_base_20rocsparse_diag_type_20rocsparse_direction_
; %bb.0:
	s_clause 0x1
	s_load_b64 s[24:25], s[0:1], 0x0
	s_load_b128 s[8:11], s[0:1], 0x8
	s_bfe_u32 s4, ttmp6, 0x4000c
	s_and_b32 s3, ttmp6, 15
	s_add_co_i32 s4, s4, 1
	s_getreg_b32 s5, hwreg(HW_REG_IB_STS2, 6, 4)
	s_mul_i32 s4, ttmp9, s4
	v_dual_lshrrev_b32 v6, 2, v0 :: v_dual_bitop2_b32 v7, 3, v0 bitop3:0x40
	s_add_co_i32 s3, s3, s4
	s_wait_kmcnt 0x0
	s_cvt_f32_u32 s2, s24
	s_sub_co_i32 s6, 0, s24
	s_delay_alu instid0(SALU_CYCLE_2) | instskip(SKIP_1) | instid1(TRANS32_DEP_1)
	v_rcp_iflag_f32_e32 v1, s2
	v_nop
	v_readfirstlane_b32 s2, v1
	s_mul_f32 s2, s2, 0x4f7ffffe
	s_delay_alu instid0(SALU_CYCLE_3) | instskip(NEXT) | instid1(SALU_CYCLE_3)
	s_cvt_u32_f32 s2, s2
	s_mul_i32 s6, s6, s2
	s_delay_alu instid0(SALU_CYCLE_1) | instskip(NEXT) | instid1(SALU_CYCLE_1)
	s_mul_hi_u32 s6, s2, s6
	s_add_co_i32 s2, s2, s6
	s_cmp_eq_u32 s5, 0
	s_load_b128 s[4:7], s[0:1], 0x38
	s_cselect_b32 s3, ttmp9, s3
	s_delay_alu instid0(SALU_CYCLE_1) | instskip(NEXT) | instid1(SALU_CYCLE_1)
	s_mul_hi_u32 s2, s3, s2
	s_mul_i32 s12, s2, s24
	s_add_co_i32 s13, s2, 1
	s_sub_co_i32 s12, s3, s12
	s_delay_alu instid0(SALU_CYCLE_1)
	s_sub_co_i32 s14, s12, s24
	s_cmp_ge_u32 s12, s24
	s_cselect_b32 s2, s13, s2
	s_cselect_b32 s12, s14, s12
	s_add_co_i32 s13, s2, 1
	s_cmp_ge_u32 s12, s24
	s_cselect_b32 s19, s13, s2
	s_delay_alu instid0(SALU_CYCLE_1) | instskip(SKIP_4) | instid1(SALU_CYCLE_1)
	s_mul_i32 s15, s19, s24
	s_lshl_b32 s19, s19, 4
	s_sub_co_i32 s2, s3, s15
	v_or_b32_e32 v1, s19, v6
	s_ashr_i32 s3, s2, 31
	s_lshl_b64 s[12:13], s[2:3], 2
	s_load_b64 s[2:3], s[0:1], 0x48
	s_wait_kmcnt 0x0
	s_add_nc_u64 s[6:7], s[6:7], s[12:13]
	v_cmp_gt_i32_e32 vcc_lo, s25, v1
	s_load_b32 s6, s[6:7], 0x0
	s_wait_kmcnt 0x0
	s_ashr_i32 s7, s6, 31
	s_delay_alu instid0(SALU_CYCLE_1) | instskip(NEXT) | instid1(SALU_CYCLE_1)
	s_lshl_b64 s[12:13], s[6:7], 2
	s_add_nc_u64 s[26:27], s[8:9], s[12:13]
	s_load_b96 s[12:14], s[0:1], 0x50
	s_load_b64 s[8:9], s[26:27], 0x0
	s_clause 0x1
	s_load_b96 s[16:18], s[0:1], 0x18
	s_load_b96 s[20:22], s[0:1], 0x28
	s_wait_xcnt 0x0
	v_cmp_eq_u32_e64 s0, 0, v0
	s_wait_kmcnt 0x0
	s_sub_co_i32 s23, s8, s12
	s_cmp_ge_i32 s8, s9
	s_mul_i32 s7, s6, s18
	s_mul_i32 s26, s18, s18
	s_cbranch_scc1 .LBB55_18
; %bb.1:
	v_mad_u32 v2, s18, s23, v7
	v_cmp_gt_i32_e64 s1, s18, v7
	s_sub_co_i32 s27, s9, s12
	v_mov_b32_e32 v9, 0
	s_cmp_lg_u32 s14, 0
	s_mul_i32 s30, s22, s18
	s_cselect_b32 s28, -1, 0
	s_and_b32 s1, vcc_lo, s1
	s_lshl_b32 s31, s18, 2
	v_mul_lo_u32 v8, s18, v2
	s_branch .LBB55_3
.LBB55_2:                               ;   in Loop: Header=BB55_3 Depth=1
                                        ; implicit-def: $vgpr8
	s_and_b32 vcc_lo, exec_lo, s8
	s_cbranch_vccnz .LBB55_19
.LBB55_3:                               ; =>This Loop Header: Depth=1
                                        ;     Child Loop BB55_7 Depth 2
                                        ;     Child Loop BB55_11 Depth 2
                                        ;       Child Loop BB55_13 Depth 3
	s_wait_xcnt 0x0
	v_mov_b32_e32 v2, s23
	global_load_b32 v2, v2, s[10:11] scale_offset
	s_wait_loadcnt 0x0
	v_readfirstlane_b32 s8, v2
	s_sub_co_i32 s29, s8, s12
	s_mov_b32 s8, -1
	s_cmp_ge_i32 s29, s6
	s_cbranch_scc1 .LBB55_2
; %bb.4:                                ;   in Loop: Header=BB55_3 Depth=1
	s_wait_xcnt 0x0
	s_and_saveexec_b32 s33, s0
	s_cbranch_execz .LBB55_8
; %bb.5:                                ;   in Loop: Header=BB55_3 Depth=1
	s_add_co_i32 s8, s29, s15
	s_delay_alu instid0(SALU_CYCLE_1)
	v_mov_b32_e32 v2, s8
	global_load_b32 v2, v2, s[4:5] scale_offset scope:SCOPE_DEV
	s_wait_loadcnt 0x0
	v_cmp_ne_u32_e32 vcc_lo, 0, v2
	s_cbranch_vccnz .LBB55_8
; %bb.6:                                ;   in Loop: Header=BB55_3 Depth=1
	s_ashr_i32 s9, s8, 31
	s_delay_alu instid0(SALU_CYCLE_1) | instskip(NEXT) | instid1(SALU_CYCLE_1)
	s_lshl_b64 s[8:9], s[8:9], 2
	s_add_nc_u64 s[8:9], s[4:5], s[8:9]
.LBB55_7:                               ;   Parent Loop BB55_3 Depth=1
                                        ; =>  This Inner Loop Header: Depth=2
	global_load_b32 v2, v9, s[8:9] scope:SCOPE_DEV
	s_wait_loadcnt 0x0
	v_cmp_eq_u32_e32 vcc_lo, 0, v2
	s_cbranch_vccnz .LBB55_7
.LBB55_8:                               ;   in Loop: Header=BB55_3 Depth=1
	s_wait_xcnt 0x0
	s_or_b32 exec_lo, exec_lo, s33
	global_wb scope:SCOPE_DEV
	s_wait_storecnt 0x0
	global_inv scope:SCOPE_DEV
	s_wait_loadcnt 0x0
	s_barrier_signal -1
	s_barrier_wait -1
	s_and_saveexec_b32 s8, s1
	s_cbranch_execz .LBB55_17
; %bb.9:                                ;   in Loop: Header=BB55_3 Depth=1
	v_mad_u32 v10, s30, s29, v1
	v_dual_mov_b32 v11, v8 :: v_dual_mov_b32 v12, v7
	s_mul_i32 s9, s23, s18
	s_mov_b32 s33, 0
	s_branch .LBB55_11
.LBB55_10:                              ;   in Loop: Header=BB55_11 Depth=2
	v_dual_add_nc_u32 v13, s7, v12 :: v_dual_add_nc_u32 v12, 4, v12
	v_add_nc_u32_e32 v11, s31, v11
	s_delay_alu instid0(VALU_DEP_2) | instskip(NEXT) | instid1(VALU_DEP_3)
	v_mad_u32 v13, v13, s22, v1
	v_cmp_le_i32_e32 vcc_lo, s18, v12
	s_or_b32 s33, vcc_lo, s33
	global_load_b128 v[14:17], v13, s[20:21] scale_offset
	s_wait_loadcnt 0x0
	v_add_f64_e64 v[14:15], v[14:15], -v[4:5]
	v_add_f64_e64 v[16:17], v[16:17], -v[2:3]
	global_store_b128 v13, v[14:17], s[20:21] scale_offset
	s_wait_xcnt 0x0
	s_and_not1_b32 exec_lo, exec_lo, s33
	s_cbranch_execz .LBB55_17
.LBB55_11:                              ;   Parent Loop BB55_3 Depth=1
                                        ; =>  This Loop Header: Depth=2
                                        ;       Child Loop BB55_13 Depth 3
	v_mov_b64_e32 v[2:3], 0
	v_mov_b64_e32 v[4:5], 0
	s_delay_alu instid0(VALU_DEP_4)
	v_mov_b32_e32 v13, v10
	s_mov_b32 s34, 0
	s_branch .LBB55_13
.LBB55_12:                              ;   in Loop: Header=BB55_13 Depth=3
	global_load_b128 v[16:19], v14, s[16:17] scale_offset
	global_load_b128 v[20:23], v13, s[20:21] scale_offset
	s_add_co_i32 s34, s34, 1
	s_wait_xcnt 0x0
	v_add_nc_u32_e32 v13, s22, v13
	s_cmp_eq_u32 s18, s34
	s_wait_loadcnt 0x0
	v_fmac_f64_e32 v[4:5], v[16:17], v[20:21]
	v_fmac_f64_e32 v[2:3], v[18:19], v[20:21]
	s_delay_alu instid0(VALU_DEP_2) | instskip(NEXT) | instid1(VALU_DEP_2)
	v_fma_f64 v[4:5], -v[18:19], v[22:23], v[4:5]
	v_fmac_f64_e32 v[2:3], v[16:17], v[22:23]
	s_cbranch_scc1 .LBB55_10
.LBB55_13:                              ;   Parent Loop BB55_3 Depth=1
                                        ;     Parent Loop BB55_11 Depth=2
                                        ; =>    This Inner Loop Header: Depth=3
	s_and_b32 vcc_lo, exec_lo, s28
	s_cbranch_vccz .LBB55_15
; %bb.14:                               ;   in Loop: Header=BB55_13 Depth=3
	s_add_co_i32 s35, s34, s9
	s_delay_alu instid0(SALU_CYCLE_1)
	v_mad_u32 v14, s35, s18, v12
	s_cbranch_execnz .LBB55_12
	s_branch .LBB55_16
.LBB55_15:                              ;   in Loop: Header=BB55_13 Depth=3
                                        ; implicit-def: $vgpr14
.LBB55_16:                              ;   in Loop: Header=BB55_13 Depth=3
	v_add_nc_u32_e32 v14, s34, v11
	s_branch .LBB55_12
.LBB55_17:                              ;   in Loop: Header=BB55_3 Depth=1
	s_or_b32 exec_lo, exec_lo, s8
	s_add_co_i32 s23, s23, 1
	v_add_nc_u32_e32 v8, s26, v8
	s_cmp_ge_i32 s23, s27
	s_cselect_b32 s8, -1, 0
	s_delay_alu instid0(SALU_CYCLE_1)
	s_and_b32 vcc_lo, exec_lo, s8
	s_cbranch_vccz .LBB55_3
	s_branch .LBB55_19
.LBB55_18:
	s_mov_b32 s29, s24
.LBB55_19:
	s_cmp_lt_i32 s6, s24
	v_cmp_gt_i32_e32 vcc_lo, s25, v1
	s_cselect_b32 s1, -1, 0
	s_cmp_eq_u32 s6, s29
	s_cselect_b32 s0, -1, 0
	s_delay_alu instid0(SALU_CYCLE_1) | instskip(SKIP_2) | instid1(SALU_CYCLE_1)
	s_and_b32 s0, vcc_lo, s0
	s_cmp_gt_i32 s18, 0
	s_cselect_b32 s8, -1, 0
	s_and_b32 s8, s0, s8
	s_mov_b32 s0, 0
	s_and_b32 s9, s8, s1
	s_wait_xcnt 0x0
	s_and_saveexec_b32 s8, s9
	s_cbranch_execz .LBB55_35
; %bb.20:
	v_dual_add_nc_u32 v2, s7, v7 :: v_dual_add_nc_u32 v12, 1, v7
	s_cmp_eq_u32 s13, 0
	s_mov_b32 s9, 0
	s_cselect_b32 s10, -1, 0
	s_delay_alu instid0(VALU_DEP_1)
	v_mad_u32 v2, s22, v2, s22
	s_cmp_lg_u32 s14, 0
	s_mul_i32 s11, s23, s18
	s_cselect_b32 s13, -1, 0
	s_lshl_b32 s14, s22, 2
	s_mov_b32 s24, 0
	s_delay_alu instid0(VALU_DEP_1)
	v_add3_u32 v13, v6, v2, s19
	s_mul_i32 s19, s23, s26
	s_add_co_i32 s23, s18, 1
	s_branch .LBB55_22
.LBB55_21:                              ;   in Loop: Header=BB55_22 Depth=1
	s_or_b32 exec_lo, exec_lo, s0
	v_add_nc_u32_e32 v13, s22, v13
	s_add_co_i32 s9, s9, 1
	s_add_co_i32 s19, s19, s23
	s_cmp_eq_u32 s9, s18
	s_cbranch_scc1 .LBB55_34
.LBB55_22:                              ; =>This Loop Header: Depth=1
                                        ;     Child Loop BB55_30 Depth 2
	s_and_not1_b32 vcc_lo, exec_lo, s10
	s_cbranch_vccz .LBB55_24
; %bb.23:                               ;   in Loop: Header=BB55_22 Depth=1
	v_mov_b64_e32 v[8:9], 0
	v_mov_b64_e32 v[6:7], 1.0
	s_branch .LBB55_25
.LBB55_24:                              ;   in Loop: Header=BB55_22 Depth=1
	s_add_co_i32 s0, s9, s11
	s_delay_alu instid0(SALU_CYCLE_1) | instskip(NEXT) | instid1(SALU_CYCLE_1)
	s_mul_i32 s0, s0, s18
	s_add_co_i32 s0, s0, s9
	s_wait_loadcnt 0x0
	v_mov_b32_e32 v2, s0
	global_load_b128 v[6:9], v2, s[16:17] scale_offset
.LBB55_25:                              ;   in Loop: Header=BB55_22 Depth=1
	s_add_co_i32 s0, s9, s7
	s_wait_loadcnt 0x0
	s_delay_alu instid0(VALU_DEP_1) | instskip(SKIP_4) | instid1(SALU_CYCLE_1)
	v_cmp_eq_f64_e32 vcc_lo, 0, v[6:7]
	v_mad_u32 v10, s0, s22, v1
	v_cmp_eq_f64_e64 s0, 0, v[8:9]
	global_load_b128 v[2:5], v10, s[20:21] scale_offset
	s_and_b32 s0, vcc_lo, s0
	s_and_b32 vcc_lo, exec_lo, s0
	s_cbranch_vccnz .LBB55_27
; %bb.26:                               ;   in Loop: Header=BB55_22 Depth=1
	v_dual_mul_f64 v[14:15], v[8:9], v[8:9] :: v_dual_ashrrev_i32 v11, 31, v10
	s_wait_xcnt 0x0
	s_delay_alu instid0(VALU_DEP_1) | instskip(NEXT) | instid1(VALU_DEP_2)
	v_lshl_add_u64 v[10:11], v[10:11], 4, s[20:21]
	v_fmac_f64_e32 v[14:15], v[6:7], v[6:7]
	s_delay_alu instid0(VALU_DEP_1) | instskip(SKIP_1) | instid1(VALU_DEP_2)
	v_div_scale_f64 v[16:17], null, v[14:15], v[14:15], 1.0
	v_div_scale_f64 v[22:23], vcc_lo, 1.0, v[14:15], 1.0
	v_rcp_f64_e32 v[18:19], v[16:17]
	v_nop
	s_delay_alu instid0(TRANS32_DEP_1) | instskip(NEXT) | instid1(VALU_DEP_1)
	v_fma_f64 v[20:21], -v[16:17], v[18:19], 1.0
	v_fmac_f64_e32 v[18:19], v[18:19], v[20:21]
	s_delay_alu instid0(VALU_DEP_1) | instskip(NEXT) | instid1(VALU_DEP_1)
	v_fma_f64 v[20:21], -v[16:17], v[18:19], 1.0
	v_fmac_f64_e32 v[18:19], v[18:19], v[20:21]
	s_delay_alu instid0(VALU_DEP_1) | instskip(NEXT) | instid1(VALU_DEP_1)
	v_mul_f64_e32 v[20:21], v[22:23], v[18:19]
	v_fma_f64 v[16:17], -v[16:17], v[20:21], v[22:23]
	s_wait_loadcnt 0x0
	v_mul_f64_e64 v[22:23], v[8:9], -v[2:3]
	s_delay_alu instid0(VALU_DEP_2) | instskip(SKIP_1) | instid1(VALU_DEP_3)
	v_div_fmas_f64 v[16:17], v[16:17], v[18:19], v[20:21]
	v_mul_f64_e32 v[18:19], v[8:9], v[4:5]
	v_fmac_f64_e32 v[22:23], v[4:5], v[6:7]
	s_delay_alu instid0(VALU_DEP_3) | instskip(NEXT) | instid1(VALU_DEP_3)
	v_div_fixup_f64 v[4:5], v[16:17], v[14:15], 1.0
	v_fmac_f64_e32 v[18:19], v[2:3], v[6:7]
	s_delay_alu instid0(VALU_DEP_2) | instskip(NEXT) | instid1(VALU_DEP_2)
	v_mul_f64_e32 v[8:9], v[4:5], v[22:23]
	v_mul_f64_e32 v[6:7], v[4:5], v[18:19]
	s_delay_alu instid0(VALU_DEP_2) | instskip(NEXT) | instid1(VALU_DEP_2)
	v_mov_b64_e32 v[4:5], v[8:9]
	v_mov_b64_e32 v[2:3], v[6:7]
	global_store_b128 v[10:11], v[6:9], off
	s_wait_xcnt 0x0
	v_add_nc_u32_e32 v6, s9, v12
	s_mov_b32 s0, exec_lo
	s_delay_alu instid0(VALU_DEP_1)
	v_cmpx_gt_i32_e64 s18, v6
	s_cbranch_execz .LBB55_21
	s_branch .LBB55_28
.LBB55_27:                              ;   in Loop: Header=BB55_22 Depth=1
	s_mov_b32 s24, -1
	v_add_nc_u32_e32 v6, s9, v12
	s_mov_b32 s0, exec_lo
	s_wait_xcnt 0x0
	s_delay_alu instid0(VALU_DEP_1)
	v_cmpx_gt_i32_e64 s18, v6
	s_cbranch_execz .LBB55_21
.LBB55_28:                              ;   in Loop: Header=BB55_22 Depth=1
	v_dual_mov_b32 v7, v13 :: v_dual_mov_b32 v8, v12
	s_mov_b32 s25, 0
	s_branch .LBB55_30
.LBB55_29:                              ;   in Loop: Header=BB55_30 Depth=2
	global_load_b128 v[14:17], v9, s[16:17] scale_offset
	global_load_b128 v[18:21], v7, s[20:21] scale_offset
	v_dual_add_nc_u32 v6, 4, v6 :: v_dual_add_nc_u32 v8, 4, v8
	s_wait_xcnt 0x1
	s_delay_alu instid0(VALU_DEP_1) | instskip(NEXT) | instid1(VALU_DEP_1)
	v_add_nc_u32_e32 v9, s9, v8
	v_cmp_le_i32_e32 vcc_lo, s18, v9
	s_or_b32 s25, vcc_lo, s25
	s_wait_loadcnt 0x1
	v_mul_f64_e64 v[10:11], v[16:17], -v[4:5]
	v_mul_f64_e32 v[16:17], v[2:3], v[16:17]
	s_delay_alu instid0(VALU_DEP_2) | instskip(NEXT) | instid1(VALU_DEP_2)
	v_fmac_f64_e32 v[10:11], v[2:3], v[14:15]
	v_fmac_f64_e32 v[16:17], v[4:5], v[14:15]
	s_wait_loadcnt 0x0
	s_delay_alu instid0(VALU_DEP_2) | instskip(NEXT) | instid1(VALU_DEP_2)
	v_add_f64_e64 v[14:15], v[18:19], -v[10:11]
	v_add_f64_e64 v[16:17], v[20:21], -v[16:17]
	global_store_b128 v7, v[14:17], s[20:21] scale_offset
	s_wait_xcnt 0x0
	v_add_nc_u32_e32 v7, s14, v7
	s_and_not1_b32 exec_lo, exec_lo, s25
	s_cbranch_execz .LBB55_21
.LBB55_30:                              ;   Parent Loop BB55_22 Depth=1
                                        ; =>  This Inner Loop Header: Depth=2
	s_and_b32 vcc_lo, exec_lo, s13
	s_cbranch_vccz .LBB55_32
; %bb.31:                               ;   in Loop: Header=BB55_30 Depth=2
	v_add_nc_u32_e32 v9, s19, v8
	s_cbranch_execnz .LBB55_29
	s_branch .LBB55_33
.LBB55_32:                              ;   in Loop: Header=BB55_30 Depth=2
                                        ; implicit-def: $vgpr9
.LBB55_33:                              ;   in Loop: Header=BB55_30 Depth=2
	v_add_nc_u32_e32 v9, s11, v6
	s_delay_alu instid0(VALU_DEP_1)
	v_mad_u32 v9, v9, s18, s9
	s_branch .LBB55_29
.LBB55_34:
	s_and_b32 s0, s24, exec_lo
.LBB55_35:
	s_or_b32 exec_lo, exec_lo, s8
	v_cmp_eq_u32_e32 vcc_lo, 0, v0
	global_wb scope:SCOPE_DEV
	s_wait_loadcnt 0x0
	s_wait_storecnt 0x0
	global_inv scope:SCOPE_DEV
	s_wait_loadcnt 0x0
	s_barrier_signal -1
	s_barrier_wait -1
	s_and_b32 s1, vcc_lo, s1
	s_delay_alu instid0(SALU_CYCLE_1)
	s_and_saveexec_b32 s7, s1
	s_cbranch_execz .LBB55_39
; %bb.36:
	s_add_co_i32 s1, s6, s15
	s_delay_alu instid0(SALU_CYCLE_1)
	v_dual_mov_b32 v0, 1 :: v_dual_mov_b32 v1, s1
	global_store_b32 v1, v0, s[4:5] scale_offset scope:SCOPE_DEV
	s_wait_xcnt 0x0
	s_and_b32 exec_lo, exec_lo, s0
	s_cbranch_execz .LBB55_39
; %bb.37:
	v_mbcnt_lo_u32_b32 v0, exec_lo, 0
	s_delay_alu instid0(VALU_DEP_1)
	v_cmp_eq_u32_e32 vcc_lo, 0, v0
	s_and_b32 exec_lo, exec_lo, vcc_lo
	s_cbranch_execz .LBB55_39
; %bb.38:
	s_add_co_i32 s0, s6, s12
	s_delay_alu instid0(SALU_CYCLE_1)
	v_dual_mov_b32 v0, 0 :: v_dual_mov_b32 v1, s0
	global_atomic_min_i32 v0, v1, s[2:3] scope:SCOPE_DEV
.LBB55_39:
	s_endpgm
	.section	.rodata,"a",@progbits
	.p2align	6, 0x0
	.amdhsa_kernel _ZN9rocsparseL24bsrsm_lower_large_kernelILj64ELj16ELb0E21rocsparse_complex_numIdEEEviiPKiS4_PKT2_iPS5_iPiS4_S9_21rocsparse_index_base_20rocsparse_diag_type_20rocsparse_direction_
		.amdhsa_group_segment_fixed_size 0
		.amdhsa_private_segment_fixed_size 0
		.amdhsa_kernarg_size 92
		.amdhsa_user_sgpr_count 2
		.amdhsa_user_sgpr_dispatch_ptr 0
		.amdhsa_user_sgpr_queue_ptr 0
		.amdhsa_user_sgpr_kernarg_segment_ptr 1
		.amdhsa_user_sgpr_dispatch_id 0
		.amdhsa_user_sgpr_kernarg_preload_length 0
		.amdhsa_user_sgpr_kernarg_preload_offset 0
		.amdhsa_user_sgpr_private_segment_size 0
		.amdhsa_wavefront_size32 1
		.amdhsa_uses_dynamic_stack 0
		.amdhsa_enable_private_segment 0
		.amdhsa_system_sgpr_workgroup_id_x 1
		.amdhsa_system_sgpr_workgroup_id_y 0
		.amdhsa_system_sgpr_workgroup_id_z 0
		.amdhsa_system_sgpr_workgroup_info 0
		.amdhsa_system_vgpr_workitem_id 0
		.amdhsa_next_free_vgpr 24
		.amdhsa_next_free_sgpr 36
		.amdhsa_named_barrier_count 0
		.amdhsa_reserve_vcc 1
		.amdhsa_float_round_mode_32 0
		.amdhsa_float_round_mode_16_64 0
		.amdhsa_float_denorm_mode_32 3
		.amdhsa_float_denorm_mode_16_64 3
		.amdhsa_fp16_overflow 0
		.amdhsa_memory_ordered 1
		.amdhsa_forward_progress 1
		.amdhsa_inst_pref_size 14
		.amdhsa_round_robin_scheduling 0
		.amdhsa_exception_fp_ieee_invalid_op 0
		.amdhsa_exception_fp_denorm_src 0
		.amdhsa_exception_fp_ieee_div_zero 0
		.amdhsa_exception_fp_ieee_overflow 0
		.amdhsa_exception_fp_ieee_underflow 0
		.amdhsa_exception_fp_ieee_inexact 0
		.amdhsa_exception_int_div_zero 0
	.end_amdhsa_kernel
	.section	.text._ZN9rocsparseL24bsrsm_lower_large_kernelILj64ELj16ELb0E21rocsparse_complex_numIdEEEviiPKiS4_PKT2_iPS5_iPiS4_S9_21rocsparse_index_base_20rocsparse_diag_type_20rocsparse_direction_,"axG",@progbits,_ZN9rocsparseL24bsrsm_lower_large_kernelILj64ELj16ELb0E21rocsparse_complex_numIdEEEviiPKiS4_PKT2_iPS5_iPiS4_S9_21rocsparse_index_base_20rocsparse_diag_type_20rocsparse_direction_,comdat
.Lfunc_end55:
	.size	_ZN9rocsparseL24bsrsm_lower_large_kernelILj64ELj16ELb0E21rocsparse_complex_numIdEEEviiPKiS4_PKT2_iPS5_iPiS4_S9_21rocsparse_index_base_20rocsparse_diag_type_20rocsparse_direction_, .Lfunc_end55-_ZN9rocsparseL24bsrsm_lower_large_kernelILj64ELj16ELb0E21rocsparse_complex_numIdEEEviiPKiS4_PKT2_iPS5_iPiS4_S9_21rocsparse_index_base_20rocsparse_diag_type_20rocsparse_direction_
                                        ; -- End function
	.set _ZN9rocsparseL24bsrsm_lower_large_kernelILj64ELj16ELb0E21rocsparse_complex_numIdEEEviiPKiS4_PKT2_iPS5_iPiS4_S9_21rocsparse_index_base_20rocsparse_diag_type_20rocsparse_direction_.num_vgpr, 24
	.set _ZN9rocsparseL24bsrsm_lower_large_kernelILj64ELj16ELb0E21rocsparse_complex_numIdEEEviiPKiS4_PKT2_iPS5_iPiS4_S9_21rocsparse_index_base_20rocsparse_diag_type_20rocsparse_direction_.num_agpr, 0
	.set _ZN9rocsparseL24bsrsm_lower_large_kernelILj64ELj16ELb0E21rocsparse_complex_numIdEEEviiPKiS4_PKT2_iPS5_iPiS4_S9_21rocsparse_index_base_20rocsparse_diag_type_20rocsparse_direction_.numbered_sgpr, 36
	.set _ZN9rocsparseL24bsrsm_lower_large_kernelILj64ELj16ELb0E21rocsparse_complex_numIdEEEviiPKiS4_PKT2_iPS5_iPiS4_S9_21rocsparse_index_base_20rocsparse_diag_type_20rocsparse_direction_.num_named_barrier, 0
	.set _ZN9rocsparseL24bsrsm_lower_large_kernelILj64ELj16ELb0E21rocsparse_complex_numIdEEEviiPKiS4_PKT2_iPS5_iPiS4_S9_21rocsparse_index_base_20rocsparse_diag_type_20rocsparse_direction_.private_seg_size, 0
	.set _ZN9rocsparseL24bsrsm_lower_large_kernelILj64ELj16ELb0E21rocsparse_complex_numIdEEEviiPKiS4_PKT2_iPS5_iPiS4_S9_21rocsparse_index_base_20rocsparse_diag_type_20rocsparse_direction_.uses_vcc, 1
	.set _ZN9rocsparseL24bsrsm_lower_large_kernelILj64ELj16ELb0E21rocsparse_complex_numIdEEEviiPKiS4_PKT2_iPS5_iPiS4_S9_21rocsparse_index_base_20rocsparse_diag_type_20rocsparse_direction_.uses_flat_scratch, 0
	.set _ZN9rocsparseL24bsrsm_lower_large_kernelILj64ELj16ELb0E21rocsparse_complex_numIdEEEviiPKiS4_PKT2_iPS5_iPiS4_S9_21rocsparse_index_base_20rocsparse_diag_type_20rocsparse_direction_.has_dyn_sized_stack, 0
	.set _ZN9rocsparseL24bsrsm_lower_large_kernelILj64ELj16ELb0E21rocsparse_complex_numIdEEEviiPKiS4_PKT2_iPS5_iPiS4_S9_21rocsparse_index_base_20rocsparse_diag_type_20rocsparse_direction_.has_recursion, 0
	.set _ZN9rocsparseL24bsrsm_lower_large_kernelILj64ELj16ELb0E21rocsparse_complex_numIdEEEviiPKiS4_PKT2_iPS5_iPiS4_S9_21rocsparse_index_base_20rocsparse_diag_type_20rocsparse_direction_.has_indirect_call, 0
	.section	.AMDGPU.csdata,"",@progbits
; Kernel info:
; codeLenInByte = 1776
; TotalNumSgprs: 38
; NumVgprs: 24
; ScratchSize: 0
; MemoryBound: 0
; FloatMode: 240
; IeeeMode: 1
; LDSByteSize: 0 bytes/workgroup (compile time only)
; SGPRBlocks: 0
; VGPRBlocks: 1
; NumSGPRsForWavesPerEU: 38
; NumVGPRsForWavesPerEU: 24
; NamedBarCnt: 0
; Occupancy: 16
; WaveLimiterHint : 1
; COMPUTE_PGM_RSRC2:SCRATCH_EN: 0
; COMPUTE_PGM_RSRC2:USER_SGPR: 2
; COMPUTE_PGM_RSRC2:TRAP_HANDLER: 0
; COMPUTE_PGM_RSRC2:TGID_X_EN: 1
; COMPUTE_PGM_RSRC2:TGID_Y_EN: 0
; COMPUTE_PGM_RSRC2:TGID_Z_EN: 0
; COMPUTE_PGM_RSRC2:TIDIG_COMP_CNT: 0
	.section	.text._ZN9rocsparseL24bsrsm_upper_large_kernelILj128ELj16ELb0E21rocsparse_complex_numIdEEEviiPKiS4_PKT2_iPS5_iPiS4_S9_21rocsparse_index_base_20rocsparse_diag_type_20rocsparse_direction_,"axG",@progbits,_ZN9rocsparseL24bsrsm_upper_large_kernelILj128ELj16ELb0E21rocsparse_complex_numIdEEEviiPKiS4_PKT2_iPS5_iPiS4_S9_21rocsparse_index_base_20rocsparse_diag_type_20rocsparse_direction_,comdat
	.globl	_ZN9rocsparseL24bsrsm_upper_large_kernelILj128ELj16ELb0E21rocsparse_complex_numIdEEEviiPKiS4_PKT2_iPS5_iPiS4_S9_21rocsparse_index_base_20rocsparse_diag_type_20rocsparse_direction_ ; -- Begin function _ZN9rocsparseL24bsrsm_upper_large_kernelILj128ELj16ELb0E21rocsparse_complex_numIdEEEviiPKiS4_PKT2_iPS5_iPiS4_S9_21rocsparse_index_base_20rocsparse_diag_type_20rocsparse_direction_
	.p2align	8
	.type	_ZN9rocsparseL24bsrsm_upper_large_kernelILj128ELj16ELb0E21rocsparse_complex_numIdEEEviiPKiS4_PKT2_iPS5_iPiS4_S9_21rocsparse_index_base_20rocsparse_diag_type_20rocsparse_direction_,@function
_ZN9rocsparseL24bsrsm_upper_large_kernelILj128ELj16ELb0E21rocsparse_complex_numIdEEEviiPKiS4_PKT2_iPS5_iPiS4_S9_21rocsparse_index_base_20rocsparse_diag_type_20rocsparse_direction_: ; @_ZN9rocsparseL24bsrsm_upper_large_kernelILj128ELj16ELb0E21rocsparse_complex_numIdEEEviiPKiS4_PKT2_iPS5_iPiS4_S9_21rocsparse_index_base_20rocsparse_diag_type_20rocsparse_direction_
; %bb.0:
	s_clause 0x1
	s_load_b64 s[24:25], s[0:1], 0x0
	s_load_b128 s[8:11], s[0:1], 0x8
	s_bfe_u32 s4, ttmp6, 0x4000c
	s_and_b32 s3, ttmp6, 15
	s_add_co_i32 s4, s4, 1
	s_getreg_b32 s5, hwreg(HW_REG_IB_STS2, 6, 4)
	s_mul_i32 s4, ttmp9, s4
	v_dual_lshrrev_b32 v6, 3, v0 :: v_dual_bitop2_b32 v12, 7, v0 bitop3:0x40
	s_add_co_i32 s3, s3, s4
	s_wait_kmcnt 0x0
	s_cvt_f32_u32 s2, s24
	s_sub_co_i32 s6, 0, s24
	s_delay_alu instid0(SALU_CYCLE_2) | instskip(SKIP_1) | instid1(TRANS32_DEP_1)
	v_rcp_iflag_f32_e32 v1, s2
	v_nop
	v_readfirstlane_b32 s2, v1
	s_mul_f32 s2, s2, 0x4f7ffffe
	s_delay_alu instid0(SALU_CYCLE_3) | instskip(NEXT) | instid1(SALU_CYCLE_3)
	s_cvt_u32_f32 s2, s2
	s_mul_i32 s6, s6, s2
	s_delay_alu instid0(SALU_CYCLE_1) | instskip(NEXT) | instid1(SALU_CYCLE_1)
	s_mul_hi_u32 s6, s2, s6
	s_add_co_i32 s2, s2, s6
	s_cmp_eq_u32 s5, 0
	s_load_b128 s[4:7], s[0:1], 0x38
	s_cselect_b32 s3, ttmp9, s3
	s_delay_alu instid0(SALU_CYCLE_1) | instskip(NEXT) | instid1(SALU_CYCLE_1)
	s_mul_hi_u32 s2, s3, s2
	s_mul_i32 s12, s2, s24
	s_add_co_i32 s13, s2, 1
	s_sub_co_i32 s12, s3, s12
	s_delay_alu instid0(SALU_CYCLE_1)
	s_sub_co_i32 s14, s12, s24
	s_cmp_ge_u32 s12, s24
	s_cselect_b32 s2, s13, s2
	s_cselect_b32 s12, s14, s12
	s_add_co_i32 s13, s2, 1
	s_cmp_ge_u32 s12, s24
	s_cselect_b32 s19, s13, s2
	s_delay_alu instid0(SALU_CYCLE_1) | instskip(SKIP_4) | instid1(SALU_CYCLE_1)
	s_mul_i32 s15, s19, s24
	s_lshl_b32 s19, s19, 4
	s_sub_co_i32 s2, s3, s15
	v_or_b32_e32 v1, s19, v6
	s_ashr_i32 s3, s2, 31
	s_lshl_b64 s[12:13], s[2:3], 2
	s_load_b64 s[2:3], s[0:1], 0x48
	s_wait_kmcnt 0x0
	s_add_nc_u64 s[6:7], s[6:7], s[12:13]
	s_load_b96 s[12:14], s[0:1], 0x50
	v_cmp_gt_i32_e32 vcc_lo, s25, v1
	s_load_b32 s6, s[6:7], 0x0
	s_wait_kmcnt 0x0
	s_ashr_i32 s7, s6, 31
	s_delay_alu instid0(SALU_CYCLE_1) | instskip(NEXT) | instid1(SALU_CYCLE_1)
	s_lshl_b64 s[16:17], s[6:7], 2
	s_add_nc_u64 s[8:9], s[8:9], s[16:17]
	s_load_b64 s[26:27], s[8:9], 0x0
	s_clause 0x1
	s_load_b96 s[16:18], s[0:1], 0x18
	s_load_b96 s[20:22], s[0:1], 0x28
	s_wait_xcnt 0x0
	s_not_b32 s0, s12
	s_wait_kmcnt 0x0
	s_add_co_i32 s23, s27, s0
	v_cmp_eq_u32_e64 s0, 0, v0
	s_sub_co_i32 s26, s26, s12
	s_mul_i32 s7, s6, s18
	s_cmp_lt_i32 s23, s26
	s_cbranch_scc1 .LBB56_18
; %bb.1:
	v_mad_u32 v2, s18, s23, v12
	v_cmp_gt_i32_e64 s1, s18, v12
	v_mov_b32_e32 v8, 0
	s_cmp_lg_u32 s14, 0
	s_mul_i32 s29, s22, s18
	s_cselect_b32 s27, -1, 0
	s_and_b32 s1, vcc_lo, s1
	s_mul_i32 s30, s18, s18
	s_lshl_b32 s31, s18, 3
	v_mul_lo_u32 v7, s18, v2
	s_branch .LBB56_3
.LBB56_2:                               ;   in Loop: Header=BB56_3 Depth=1
                                        ; implicit-def: $vgpr7
	s_cbranch_execnz .LBB56_19
.LBB56_3:                               ; =>This Loop Header: Depth=1
                                        ;     Child Loop BB56_7 Depth 2
                                        ;     Child Loop BB56_11 Depth 2
                                        ;       Child Loop BB56_13 Depth 3
	s_wait_xcnt 0x0
	v_mov_b32_e32 v2, s23
	global_load_b32 v2, v2, s[10:11] scale_offset
	s_wait_loadcnt 0x0
	v_readfirstlane_b32 s8, v2
	s_sub_co_i32 s28, s8, s12
	s_delay_alu instid0(SALU_CYCLE_1)
	s_cmp_le_i32 s28, s6
	s_cbranch_scc1 .LBB56_2
; %bb.4:                                ;   in Loop: Header=BB56_3 Depth=1
	s_wait_xcnt 0x0
	s_and_saveexec_b32 s33, s0
	s_cbranch_execz .LBB56_8
; %bb.5:                                ;   in Loop: Header=BB56_3 Depth=1
	s_add_co_i32 s8, s28, s15
	s_delay_alu instid0(SALU_CYCLE_1)
	v_mov_b32_e32 v2, s8
	global_load_b32 v2, v2, s[4:5] scale_offset scope:SCOPE_DEV
	s_wait_loadcnt 0x0
	v_cmp_ne_u32_e32 vcc_lo, 0, v2
	s_cbranch_vccnz .LBB56_8
; %bb.6:                                ;   in Loop: Header=BB56_3 Depth=1
	s_ashr_i32 s9, s8, 31
	s_delay_alu instid0(SALU_CYCLE_1) | instskip(NEXT) | instid1(SALU_CYCLE_1)
	s_lshl_b64 s[8:9], s[8:9], 2
	s_add_nc_u64 s[8:9], s[4:5], s[8:9]
.LBB56_7:                               ;   Parent Loop BB56_3 Depth=1
                                        ; =>  This Inner Loop Header: Depth=2
	global_load_b32 v2, v8, s[8:9] scope:SCOPE_DEV
	s_wait_loadcnt 0x0
	v_cmp_eq_u32_e32 vcc_lo, 0, v2
	s_cbranch_vccnz .LBB56_7
.LBB56_8:                               ;   in Loop: Header=BB56_3 Depth=1
	s_wait_xcnt 0x0
	s_or_b32 exec_lo, exec_lo, s33
	global_wb scope:SCOPE_DEV
	s_wait_storecnt 0x0
	global_inv scope:SCOPE_DEV
	s_wait_loadcnt 0x0
	s_barrier_signal -1
	s_barrier_wait -1
	s_and_saveexec_b32 s8, s1
	s_cbranch_execz .LBB56_17
; %bb.9:                                ;   in Loop: Header=BB56_3 Depth=1
	v_mad_u32 v9, s29, s28, v1
	v_dual_mov_b32 v10, v7 :: v_dual_mov_b32 v11, v12
	s_mul_i32 s9, s23, s18
	s_mov_b32 s33, 0
	s_branch .LBB56_11
.LBB56_10:                              ;   in Loop: Header=BB56_11 Depth=2
	v_dual_add_nc_u32 v13, s7, v11 :: v_dual_add_nc_u32 v11, 8, v11
	v_add_nc_u32_e32 v10, s31, v10
	s_delay_alu instid0(VALU_DEP_2) | instskip(NEXT) | instid1(VALU_DEP_3)
	v_mad_u32 v13, v13, s22, v1
	v_cmp_le_i32_e32 vcc_lo, s18, v11
	s_or_b32 s33, vcc_lo, s33
	global_load_b128 v[14:17], v13, s[20:21] scale_offset
	s_wait_loadcnt 0x0
	v_add_f64_e64 v[14:15], v[14:15], -v[4:5]
	v_add_f64_e64 v[16:17], v[16:17], -v[2:3]
	global_store_b128 v13, v[14:17], s[20:21] scale_offset
	s_wait_xcnt 0x0
	s_and_not1_b32 exec_lo, exec_lo, s33
	s_cbranch_execz .LBB56_17
.LBB56_11:                              ;   Parent Loop BB56_3 Depth=1
                                        ; =>  This Loop Header: Depth=2
                                        ;       Child Loop BB56_13 Depth 3
	v_mov_b64_e32 v[2:3], 0
	v_mov_b64_e32 v[4:5], 0
	s_delay_alu instid0(VALU_DEP_4)
	v_mov_b32_e32 v13, v9
	s_mov_b32 s34, 0
	s_branch .LBB56_13
.LBB56_12:                              ;   in Loop: Header=BB56_13 Depth=3
	global_load_b128 v[16:19], v14, s[16:17] scale_offset
	global_load_b128 v[20:23], v13, s[20:21] scale_offset
	s_add_co_i32 s34, s34, 1
	s_wait_xcnt 0x0
	v_add_nc_u32_e32 v13, s22, v13
	s_cmp_eq_u32 s18, s34
	s_wait_loadcnt 0x0
	v_fmac_f64_e32 v[4:5], v[16:17], v[20:21]
	v_fmac_f64_e32 v[2:3], v[18:19], v[20:21]
	s_delay_alu instid0(VALU_DEP_2) | instskip(NEXT) | instid1(VALU_DEP_2)
	v_fma_f64 v[4:5], -v[18:19], v[22:23], v[4:5]
	v_fmac_f64_e32 v[2:3], v[16:17], v[22:23]
	s_cbranch_scc1 .LBB56_10
.LBB56_13:                              ;   Parent Loop BB56_3 Depth=1
                                        ;     Parent Loop BB56_11 Depth=2
                                        ; =>    This Inner Loop Header: Depth=3
	s_and_b32 vcc_lo, exec_lo, s27
	s_cbranch_vccz .LBB56_15
; %bb.14:                               ;   in Loop: Header=BB56_13 Depth=3
	s_add_co_i32 s35, s34, s9
	s_delay_alu instid0(SALU_CYCLE_1)
	v_mad_u32 v14, s35, s18, v11
	s_cbranch_execnz .LBB56_12
	s_branch .LBB56_16
.LBB56_15:                              ;   in Loop: Header=BB56_13 Depth=3
                                        ; implicit-def: $vgpr14
.LBB56_16:                              ;   in Loop: Header=BB56_13 Depth=3
	v_add_nc_u32_e32 v14, s34, v10
	s_branch .LBB56_12
.LBB56_17:                              ;   in Loop: Header=BB56_3 Depth=1
	s_or_b32 exec_lo, exec_lo, s8
	s_add_co_i32 s9, s23, -1
	s_cmp_le_i32 s23, s26
	v_subrev_nc_u32_e32 v7, s30, v7
	s_cselect_b32 s8, -1, 0
	s_mov_b32 s23, s9
	s_and_b32 vcc_lo, exec_lo, s8
	s_cbranch_vccz .LBB56_3
	s_branch .LBB56_19
.LBB56_18:
	s_mov_b32 s28, s24
.LBB56_19:
	s_cmp_lt_i32 s6, s24
	v_cmp_gt_i32_e32 vcc_lo, s25, v1
	s_cselect_b32 s1, -1, 0
	s_cmp_eq_u32 s6, s28
	s_cselect_b32 s0, -1, 0
	s_delay_alu instid0(SALU_CYCLE_1) | instskip(SKIP_2) | instid1(SALU_CYCLE_1)
	s_and_b32 s0, vcc_lo, s0
	s_cmp_gt_i32 s18, 0
	s_cselect_b32 s8, -1, 0
	s_and_b32 s8, s0, s8
	s_mov_b32 s0, 0
	s_and_b32 s9, s8, s1
	s_wait_xcnt 0x0
	s_and_saveexec_b32 s8, s9
	s_cbranch_execz .LBB56_36
; %bb.20:
	v_add_nc_u32_e32 v2, s7, v12
	s_cmp_eq_u32 s13, 0
	s_mov_b32 s13, 0
	s_cselect_b32 s9, -1, 0
	s_cmp_lg_u32 s14, 0
	v_mul_lo_u32 v2, s22, v2
	s_cselect_b32 s10, -1, 0
	s_add_co_i32 s0, s23, 1
	s_mul_i32 s11, s23, s18
	s_mul_i32 s0, s18, s0
	s_lshl_b32 s14, s22, 3
	s_add_co_i32 s0, s0, -1
	s_mov_b32 s23, s18
	s_delay_alu instid0(VALU_DEP_1)
	v_add3_u32 v13, v6, v2, s19
	s_mul_i32 s19, s18, s0
	s_and_not1_b32 vcc_lo, exec_lo, s9
	s_add_co_i32 s24, s23, -1
	s_cbranch_vccz .LBB56_22
.LBB56_21:
	v_mov_b64_e32 v[8:9], 0
	v_mov_b64_e32 v[6:7], 1.0
	s_branch .LBB56_23
.LBB56_22:
	s_add_co_i32 s0, s24, s11
	s_delay_alu instid0(SALU_CYCLE_1) | instskip(NEXT) | instid1(SALU_CYCLE_1)
	s_mul_i32 s0, s0, s18
	s_add_co_i32 s0, s0, s24
	s_wait_loadcnt 0x0
	v_mov_b32_e32 v2, s0
	global_load_b128 v[6:9], v2, s[16:17] scale_offset
.LBB56_23:
	s_add_co_i32 s0, s24, s7
	s_wait_loadcnt 0x0
	s_delay_alu instid0(VALU_DEP_1) | instskip(SKIP_4) | instid1(SALU_CYCLE_1)
	v_cmp_eq_f64_e32 vcc_lo, 0, v[6:7]
	v_mad_u32 v10, s0, s22, v1
	v_cmp_eq_f64_e64 s0, 0, v[8:9]
	global_load_b128 v[2:5], v10, s[20:21] scale_offset
	s_and_b32 s0, vcc_lo, s0
	s_and_b32 vcc_lo, exec_lo, s0
	s_cbranch_vccnz .LBB56_25
; %bb.24:
	v_dual_mul_f64 v[14:15], v[8:9], v[8:9] :: v_dual_ashrrev_i32 v11, 31, v10
	s_wait_xcnt 0x0
	s_delay_alu instid0(VALU_DEP_1) | instskip(NEXT) | instid1(VALU_DEP_2)
	v_lshl_add_u64 v[10:11], v[10:11], 4, s[20:21]
	v_fmac_f64_e32 v[14:15], v[6:7], v[6:7]
	s_delay_alu instid0(VALU_DEP_1) | instskip(SKIP_1) | instid1(VALU_DEP_2)
	v_div_scale_f64 v[16:17], null, v[14:15], v[14:15], 1.0
	v_div_scale_f64 v[22:23], vcc_lo, 1.0, v[14:15], 1.0
	v_rcp_f64_e32 v[18:19], v[16:17]
	v_nop
	s_delay_alu instid0(TRANS32_DEP_1) | instskip(NEXT) | instid1(VALU_DEP_1)
	v_fma_f64 v[20:21], -v[16:17], v[18:19], 1.0
	v_fmac_f64_e32 v[18:19], v[18:19], v[20:21]
	s_delay_alu instid0(VALU_DEP_1) | instskip(NEXT) | instid1(VALU_DEP_1)
	v_fma_f64 v[20:21], -v[16:17], v[18:19], 1.0
	v_fmac_f64_e32 v[18:19], v[18:19], v[20:21]
	s_delay_alu instid0(VALU_DEP_1) | instskip(NEXT) | instid1(VALU_DEP_1)
	v_mul_f64_e32 v[20:21], v[22:23], v[18:19]
	v_fma_f64 v[16:17], -v[16:17], v[20:21], v[22:23]
	s_wait_loadcnt 0x0
	v_mul_f64_e64 v[22:23], v[8:9], -v[2:3]
	s_delay_alu instid0(VALU_DEP_2) | instskip(SKIP_1) | instid1(VALU_DEP_3)
	v_div_fmas_f64 v[16:17], v[16:17], v[18:19], v[20:21]
	v_mul_f64_e32 v[18:19], v[8:9], v[4:5]
	v_fmac_f64_e32 v[22:23], v[4:5], v[6:7]
	s_delay_alu instid0(VALU_DEP_3) | instskip(NEXT) | instid1(VALU_DEP_3)
	v_div_fixup_f64 v[4:5], v[16:17], v[14:15], 1.0
	v_fmac_f64_e32 v[18:19], v[2:3], v[6:7]
	s_delay_alu instid0(VALU_DEP_2) | instskip(NEXT) | instid1(VALU_DEP_2)
	v_mul_f64_e32 v[8:9], v[4:5], v[22:23]
	v_mul_f64_e32 v[6:7], v[4:5], v[18:19]
	s_delay_alu instid0(VALU_DEP_2) | instskip(NEXT) | instid1(VALU_DEP_2)
	v_mov_b64_e32 v[4:5], v[8:9]
	v_mov_b64_e32 v[2:3], v[6:7]
	global_store_b128 v[10:11], v[6:9], off
	s_mov_b32 s0, exec_lo
	s_wait_xcnt 0x0
	v_cmpx_gt_i32_e64 s24, v12
	s_cbranch_execnz .LBB56_26
	s_branch .LBB56_32
.LBB56_25:
	s_mov_b32 s13, -1
	s_mov_b32 s0, exec_lo
	s_wait_xcnt 0x0
	v_cmpx_gt_i32_e64 s24, v12
	s_cbranch_execz .LBB56_32
.LBB56_26:
	v_dual_mov_b32 v6, v13 :: v_dual_mov_b32 v7, v12
	s_mov_b32 s25, 0
	s_branch .LBB56_28
.LBB56_27:                              ;   in Loop: Header=BB56_28 Depth=1
	global_load_b128 v[14:17], v8, s[16:17] scale_offset
	global_load_b128 v[18:21], v6, s[20:21] scale_offset
	v_add_nc_u32_e32 v7, 8, v7
	s_delay_alu instid0(VALU_DEP_1)
	v_cmp_le_i32_e32 vcc_lo, s24, v7
	s_or_b32 s25, vcc_lo, s25
	s_wait_loadcnt 0x1
	s_wait_xcnt 0x1
	v_mul_f64_e64 v[8:9], v[16:17], -v[4:5]
	v_mul_f64_e32 v[10:11], v[2:3], v[16:17]
	s_delay_alu instid0(VALU_DEP_2) | instskip(NEXT) | instid1(VALU_DEP_2)
	v_fmac_f64_e32 v[8:9], v[2:3], v[14:15]
	v_fmac_f64_e32 v[10:11], v[4:5], v[14:15]
	s_wait_loadcnt 0x0
	s_delay_alu instid0(VALU_DEP_2) | instskip(NEXT) | instid1(VALU_DEP_2)
	v_add_f64_e64 v[8:9], v[18:19], -v[8:9]
	v_add_f64_e64 v[10:11], v[20:21], -v[10:11]
	global_store_b128 v6, v[8:11], s[20:21] scale_offset
	s_wait_xcnt 0x0
	v_add_nc_u32_e32 v6, s14, v6
	s_and_not1_b32 exec_lo, exec_lo, s25
	s_cbranch_execz .LBB56_32
.LBB56_28:                              ; =>This Inner Loop Header: Depth=1
	s_and_b32 vcc_lo, exec_lo, s10
	s_cbranch_vccz .LBB56_30
; %bb.29:                               ;   in Loop: Header=BB56_28 Depth=1
	v_add_nc_u32_e32 v8, s19, v7
	s_cbranch_execnz .LBB56_27
	s_branch .LBB56_31
.LBB56_30:                              ;   in Loop: Header=BB56_28 Depth=1
                                        ; implicit-def: $vgpr8
.LBB56_31:                              ;   in Loop: Header=BB56_28 Depth=1
	v_add_nc_u32_e32 v8, s11, v7
	s_delay_alu instid0(VALU_DEP_1)
	v_mad_u32 v8, v8, s18, s24
	s_branch .LBB56_27
.LBB56_32:
	s_or_b32 exec_lo, exec_lo, s0
; %bb.33:
	s_sub_co_i32 s19, s19, s18
	s_cmp_lt_i32 s23, 2
	s_cbranch_scc1 .LBB56_35
; %bb.34:
	s_mov_b32 s23, s24
	s_and_not1_b32 vcc_lo, exec_lo, s9
	s_add_co_i32 s24, s23, -1
	s_cbranch_vccnz .LBB56_21
	s_branch .LBB56_22
.LBB56_35:
	s_and_b32 s0, s13, exec_lo
.LBB56_36:
	s_or_b32 exec_lo, exec_lo, s8
	v_cmp_eq_u32_e32 vcc_lo, 0, v0
	global_wb scope:SCOPE_DEV
	s_wait_loadcnt 0x0
	s_wait_storecnt 0x0
	global_inv scope:SCOPE_DEV
	s_wait_loadcnt 0x0
	s_barrier_signal -1
	s_barrier_wait -1
	s_and_b32 s1, vcc_lo, s1
	s_delay_alu instid0(SALU_CYCLE_1)
	s_and_saveexec_b32 s7, s1
	s_cbranch_execz .LBB56_40
; %bb.37:
	s_add_co_i32 s1, s6, s15
	s_delay_alu instid0(SALU_CYCLE_1)
	v_dual_mov_b32 v0, 1 :: v_dual_mov_b32 v1, s1
	global_store_b32 v1, v0, s[4:5] scale_offset scope:SCOPE_DEV
	s_wait_xcnt 0x0
	s_and_b32 exec_lo, exec_lo, s0
	s_cbranch_execz .LBB56_40
; %bb.38:
	v_mbcnt_lo_u32_b32 v0, exec_lo, 0
	s_delay_alu instid0(VALU_DEP_1)
	v_cmp_eq_u32_e32 vcc_lo, 0, v0
	s_and_b32 exec_lo, exec_lo, vcc_lo
	s_cbranch_execz .LBB56_40
; %bb.39:
	s_add_co_i32 s0, s6, s12
	s_delay_alu instid0(SALU_CYCLE_1)
	v_dual_mov_b32 v0, 0 :: v_dual_mov_b32 v1, s0
	global_atomic_min_i32 v0, v1, s[2:3] scope:SCOPE_DEV
.LBB56_40:
	s_endpgm
	.section	.rodata,"a",@progbits
	.p2align	6, 0x0
	.amdhsa_kernel _ZN9rocsparseL24bsrsm_upper_large_kernelILj128ELj16ELb0E21rocsparse_complex_numIdEEEviiPKiS4_PKT2_iPS5_iPiS4_S9_21rocsparse_index_base_20rocsparse_diag_type_20rocsparse_direction_
		.amdhsa_group_segment_fixed_size 0
		.amdhsa_private_segment_fixed_size 0
		.amdhsa_kernarg_size 92
		.amdhsa_user_sgpr_count 2
		.amdhsa_user_sgpr_dispatch_ptr 0
		.amdhsa_user_sgpr_queue_ptr 0
		.amdhsa_user_sgpr_kernarg_segment_ptr 1
		.amdhsa_user_sgpr_dispatch_id 0
		.amdhsa_user_sgpr_kernarg_preload_length 0
		.amdhsa_user_sgpr_kernarg_preload_offset 0
		.amdhsa_user_sgpr_private_segment_size 0
		.amdhsa_wavefront_size32 1
		.amdhsa_uses_dynamic_stack 0
		.amdhsa_enable_private_segment 0
		.amdhsa_system_sgpr_workgroup_id_x 1
		.amdhsa_system_sgpr_workgroup_id_y 0
		.amdhsa_system_sgpr_workgroup_id_z 0
		.amdhsa_system_sgpr_workgroup_info 0
		.amdhsa_system_vgpr_workitem_id 0
		.amdhsa_next_free_vgpr 24
		.amdhsa_next_free_sgpr 36
		.amdhsa_named_barrier_count 0
		.amdhsa_reserve_vcc 1
		.amdhsa_float_round_mode_32 0
		.amdhsa_float_round_mode_16_64 0
		.amdhsa_float_denorm_mode_32 3
		.amdhsa_float_denorm_mode_16_64 3
		.amdhsa_fp16_overflow 0
		.amdhsa_memory_ordered 1
		.amdhsa_forward_progress 1
		.amdhsa_inst_pref_size 14
		.amdhsa_round_robin_scheduling 0
		.amdhsa_exception_fp_ieee_invalid_op 0
		.amdhsa_exception_fp_denorm_src 0
		.amdhsa_exception_fp_ieee_div_zero 0
		.amdhsa_exception_fp_ieee_overflow 0
		.amdhsa_exception_fp_ieee_underflow 0
		.amdhsa_exception_fp_ieee_inexact 0
		.amdhsa_exception_int_div_zero 0
	.end_amdhsa_kernel
	.section	.text._ZN9rocsparseL24bsrsm_upper_large_kernelILj128ELj16ELb0E21rocsparse_complex_numIdEEEviiPKiS4_PKT2_iPS5_iPiS4_S9_21rocsparse_index_base_20rocsparse_diag_type_20rocsparse_direction_,"axG",@progbits,_ZN9rocsparseL24bsrsm_upper_large_kernelILj128ELj16ELb0E21rocsparse_complex_numIdEEEviiPKiS4_PKT2_iPS5_iPiS4_S9_21rocsparse_index_base_20rocsparse_diag_type_20rocsparse_direction_,comdat
.Lfunc_end56:
	.size	_ZN9rocsparseL24bsrsm_upper_large_kernelILj128ELj16ELb0E21rocsparse_complex_numIdEEEviiPKiS4_PKT2_iPS5_iPiS4_S9_21rocsparse_index_base_20rocsparse_diag_type_20rocsparse_direction_, .Lfunc_end56-_ZN9rocsparseL24bsrsm_upper_large_kernelILj128ELj16ELb0E21rocsparse_complex_numIdEEEviiPKiS4_PKT2_iPS5_iPiS4_S9_21rocsparse_index_base_20rocsparse_diag_type_20rocsparse_direction_
                                        ; -- End function
	.set _ZN9rocsparseL24bsrsm_upper_large_kernelILj128ELj16ELb0E21rocsparse_complex_numIdEEEviiPKiS4_PKT2_iPS5_iPiS4_S9_21rocsparse_index_base_20rocsparse_diag_type_20rocsparse_direction_.num_vgpr, 24
	.set _ZN9rocsparseL24bsrsm_upper_large_kernelILj128ELj16ELb0E21rocsparse_complex_numIdEEEviiPKiS4_PKT2_iPS5_iPiS4_S9_21rocsparse_index_base_20rocsparse_diag_type_20rocsparse_direction_.num_agpr, 0
	.set _ZN9rocsparseL24bsrsm_upper_large_kernelILj128ELj16ELb0E21rocsparse_complex_numIdEEEviiPKiS4_PKT2_iPS5_iPiS4_S9_21rocsparse_index_base_20rocsparse_diag_type_20rocsparse_direction_.numbered_sgpr, 36
	.set _ZN9rocsparseL24bsrsm_upper_large_kernelILj128ELj16ELb0E21rocsparse_complex_numIdEEEviiPKiS4_PKT2_iPS5_iPiS4_S9_21rocsparse_index_base_20rocsparse_diag_type_20rocsparse_direction_.num_named_barrier, 0
	.set _ZN9rocsparseL24bsrsm_upper_large_kernelILj128ELj16ELb0E21rocsparse_complex_numIdEEEviiPKiS4_PKT2_iPS5_iPiS4_S9_21rocsparse_index_base_20rocsparse_diag_type_20rocsparse_direction_.private_seg_size, 0
	.set _ZN9rocsparseL24bsrsm_upper_large_kernelILj128ELj16ELb0E21rocsparse_complex_numIdEEEviiPKiS4_PKT2_iPS5_iPiS4_S9_21rocsparse_index_base_20rocsparse_diag_type_20rocsparse_direction_.uses_vcc, 1
	.set _ZN9rocsparseL24bsrsm_upper_large_kernelILj128ELj16ELb0E21rocsparse_complex_numIdEEEviiPKiS4_PKT2_iPS5_iPiS4_S9_21rocsparse_index_base_20rocsparse_diag_type_20rocsparse_direction_.uses_flat_scratch, 0
	.set _ZN9rocsparseL24bsrsm_upper_large_kernelILj128ELj16ELb0E21rocsparse_complex_numIdEEEviiPKiS4_PKT2_iPS5_iPiS4_S9_21rocsparse_index_base_20rocsparse_diag_type_20rocsparse_direction_.has_dyn_sized_stack, 0
	.set _ZN9rocsparseL24bsrsm_upper_large_kernelILj128ELj16ELb0E21rocsparse_complex_numIdEEEviiPKiS4_PKT2_iPS5_iPiS4_S9_21rocsparse_index_base_20rocsparse_diag_type_20rocsparse_direction_.has_recursion, 0
	.set _ZN9rocsparseL24bsrsm_upper_large_kernelILj128ELj16ELb0E21rocsparse_complex_numIdEEEviiPKiS4_PKT2_iPS5_iPiS4_S9_21rocsparse_index_base_20rocsparse_diag_type_20rocsparse_direction_.has_indirect_call, 0
	.section	.AMDGPU.csdata,"",@progbits
; Kernel info:
; codeLenInByte = 1756
; TotalNumSgprs: 38
; NumVgprs: 24
; ScratchSize: 0
; MemoryBound: 0
; FloatMode: 240
; IeeeMode: 1
; LDSByteSize: 0 bytes/workgroup (compile time only)
; SGPRBlocks: 0
; VGPRBlocks: 1
; NumSGPRsForWavesPerEU: 38
; NumVGPRsForWavesPerEU: 24
; NamedBarCnt: 0
; Occupancy: 16
; WaveLimiterHint : 1
; COMPUTE_PGM_RSRC2:SCRATCH_EN: 0
; COMPUTE_PGM_RSRC2:USER_SGPR: 2
; COMPUTE_PGM_RSRC2:TRAP_HANDLER: 0
; COMPUTE_PGM_RSRC2:TGID_X_EN: 1
; COMPUTE_PGM_RSRC2:TGID_Y_EN: 0
; COMPUTE_PGM_RSRC2:TGID_Z_EN: 0
; COMPUTE_PGM_RSRC2:TIDIG_COMP_CNT: 0
	.section	.text._ZN9rocsparseL24bsrsm_lower_large_kernelILj128ELj16ELb0E21rocsparse_complex_numIdEEEviiPKiS4_PKT2_iPS5_iPiS4_S9_21rocsparse_index_base_20rocsparse_diag_type_20rocsparse_direction_,"axG",@progbits,_ZN9rocsparseL24bsrsm_lower_large_kernelILj128ELj16ELb0E21rocsparse_complex_numIdEEEviiPKiS4_PKT2_iPS5_iPiS4_S9_21rocsparse_index_base_20rocsparse_diag_type_20rocsparse_direction_,comdat
	.globl	_ZN9rocsparseL24bsrsm_lower_large_kernelILj128ELj16ELb0E21rocsparse_complex_numIdEEEviiPKiS4_PKT2_iPS5_iPiS4_S9_21rocsparse_index_base_20rocsparse_diag_type_20rocsparse_direction_ ; -- Begin function _ZN9rocsparseL24bsrsm_lower_large_kernelILj128ELj16ELb0E21rocsparse_complex_numIdEEEviiPKiS4_PKT2_iPS5_iPiS4_S9_21rocsparse_index_base_20rocsparse_diag_type_20rocsparse_direction_
	.p2align	8
	.type	_ZN9rocsparseL24bsrsm_lower_large_kernelILj128ELj16ELb0E21rocsparse_complex_numIdEEEviiPKiS4_PKT2_iPS5_iPiS4_S9_21rocsparse_index_base_20rocsparse_diag_type_20rocsparse_direction_,@function
_ZN9rocsparseL24bsrsm_lower_large_kernelILj128ELj16ELb0E21rocsparse_complex_numIdEEEviiPKiS4_PKT2_iPS5_iPiS4_S9_21rocsparse_index_base_20rocsparse_diag_type_20rocsparse_direction_: ; @_ZN9rocsparseL24bsrsm_lower_large_kernelILj128ELj16ELb0E21rocsparse_complex_numIdEEEviiPKiS4_PKT2_iPS5_iPiS4_S9_21rocsparse_index_base_20rocsparse_diag_type_20rocsparse_direction_
; %bb.0:
	s_clause 0x1
	s_load_b64 s[24:25], s[0:1], 0x0
	s_load_b128 s[8:11], s[0:1], 0x8
	s_bfe_u32 s4, ttmp6, 0x4000c
	s_and_b32 s3, ttmp6, 15
	s_add_co_i32 s4, s4, 1
	s_getreg_b32 s5, hwreg(HW_REG_IB_STS2, 6, 4)
	s_mul_i32 s4, ttmp9, s4
	v_dual_lshrrev_b32 v6, 3, v0 :: v_dual_bitop2_b32 v7, 7, v0 bitop3:0x40
	s_add_co_i32 s3, s3, s4
	s_wait_kmcnt 0x0
	s_cvt_f32_u32 s2, s24
	s_sub_co_i32 s6, 0, s24
	s_delay_alu instid0(SALU_CYCLE_2) | instskip(SKIP_1) | instid1(TRANS32_DEP_1)
	v_rcp_iflag_f32_e32 v1, s2
	v_nop
	v_readfirstlane_b32 s2, v1
	s_mul_f32 s2, s2, 0x4f7ffffe
	s_delay_alu instid0(SALU_CYCLE_3) | instskip(NEXT) | instid1(SALU_CYCLE_3)
	s_cvt_u32_f32 s2, s2
	s_mul_i32 s6, s6, s2
	s_delay_alu instid0(SALU_CYCLE_1) | instskip(NEXT) | instid1(SALU_CYCLE_1)
	s_mul_hi_u32 s6, s2, s6
	s_add_co_i32 s2, s2, s6
	s_cmp_eq_u32 s5, 0
	s_load_b128 s[4:7], s[0:1], 0x38
	s_cselect_b32 s3, ttmp9, s3
	s_delay_alu instid0(SALU_CYCLE_1) | instskip(NEXT) | instid1(SALU_CYCLE_1)
	s_mul_hi_u32 s2, s3, s2
	s_mul_i32 s12, s2, s24
	s_add_co_i32 s13, s2, 1
	s_sub_co_i32 s12, s3, s12
	s_delay_alu instid0(SALU_CYCLE_1)
	s_sub_co_i32 s14, s12, s24
	s_cmp_ge_u32 s12, s24
	s_cselect_b32 s2, s13, s2
	s_cselect_b32 s12, s14, s12
	s_add_co_i32 s13, s2, 1
	s_cmp_ge_u32 s12, s24
	s_cselect_b32 s19, s13, s2
	s_delay_alu instid0(SALU_CYCLE_1) | instskip(SKIP_4) | instid1(SALU_CYCLE_1)
	s_mul_i32 s15, s19, s24
	s_lshl_b32 s19, s19, 4
	s_sub_co_i32 s2, s3, s15
	v_or_b32_e32 v1, s19, v6
	s_ashr_i32 s3, s2, 31
	s_lshl_b64 s[12:13], s[2:3], 2
	s_load_b64 s[2:3], s[0:1], 0x48
	s_wait_kmcnt 0x0
	s_add_nc_u64 s[6:7], s[6:7], s[12:13]
	v_cmp_gt_i32_e32 vcc_lo, s25, v1
	s_load_b32 s6, s[6:7], 0x0
	s_wait_kmcnt 0x0
	s_ashr_i32 s7, s6, 31
	s_delay_alu instid0(SALU_CYCLE_1) | instskip(NEXT) | instid1(SALU_CYCLE_1)
	s_lshl_b64 s[12:13], s[6:7], 2
	s_add_nc_u64 s[26:27], s[8:9], s[12:13]
	s_load_b96 s[12:14], s[0:1], 0x50
	s_load_b64 s[8:9], s[26:27], 0x0
	s_clause 0x1
	s_load_b96 s[16:18], s[0:1], 0x18
	s_load_b96 s[20:22], s[0:1], 0x28
	s_wait_xcnt 0x0
	v_cmp_eq_u32_e64 s0, 0, v0
	s_wait_kmcnt 0x0
	s_sub_co_i32 s23, s8, s12
	s_cmp_ge_i32 s8, s9
	s_mul_i32 s7, s6, s18
	s_mul_i32 s26, s18, s18
	s_cbranch_scc1 .LBB57_18
; %bb.1:
	v_mad_u32 v2, s18, s23, v7
	v_cmp_gt_i32_e64 s1, s18, v7
	s_sub_co_i32 s27, s9, s12
	v_mov_b32_e32 v9, 0
	s_cmp_lg_u32 s14, 0
	s_mul_i32 s30, s22, s18
	s_cselect_b32 s28, -1, 0
	s_and_b32 s1, vcc_lo, s1
	s_lshl_b32 s31, s18, 3
	v_mul_lo_u32 v8, s18, v2
	s_branch .LBB57_3
.LBB57_2:                               ;   in Loop: Header=BB57_3 Depth=1
                                        ; implicit-def: $vgpr8
	s_and_b32 vcc_lo, exec_lo, s8
	s_cbranch_vccnz .LBB57_19
.LBB57_3:                               ; =>This Loop Header: Depth=1
                                        ;     Child Loop BB57_7 Depth 2
                                        ;     Child Loop BB57_11 Depth 2
                                        ;       Child Loop BB57_13 Depth 3
	s_wait_xcnt 0x0
	v_mov_b32_e32 v2, s23
	global_load_b32 v2, v2, s[10:11] scale_offset
	s_wait_loadcnt 0x0
	v_readfirstlane_b32 s8, v2
	s_sub_co_i32 s29, s8, s12
	s_mov_b32 s8, -1
	s_cmp_ge_i32 s29, s6
	s_cbranch_scc1 .LBB57_2
; %bb.4:                                ;   in Loop: Header=BB57_3 Depth=1
	s_wait_xcnt 0x0
	s_and_saveexec_b32 s33, s0
	s_cbranch_execz .LBB57_8
; %bb.5:                                ;   in Loop: Header=BB57_3 Depth=1
	s_add_co_i32 s8, s29, s15
	s_delay_alu instid0(SALU_CYCLE_1)
	v_mov_b32_e32 v2, s8
	global_load_b32 v2, v2, s[4:5] scale_offset scope:SCOPE_DEV
	s_wait_loadcnt 0x0
	v_cmp_ne_u32_e32 vcc_lo, 0, v2
	s_cbranch_vccnz .LBB57_8
; %bb.6:                                ;   in Loop: Header=BB57_3 Depth=1
	s_ashr_i32 s9, s8, 31
	s_delay_alu instid0(SALU_CYCLE_1) | instskip(NEXT) | instid1(SALU_CYCLE_1)
	s_lshl_b64 s[8:9], s[8:9], 2
	s_add_nc_u64 s[8:9], s[4:5], s[8:9]
.LBB57_7:                               ;   Parent Loop BB57_3 Depth=1
                                        ; =>  This Inner Loop Header: Depth=2
	global_load_b32 v2, v9, s[8:9] scope:SCOPE_DEV
	s_wait_loadcnt 0x0
	v_cmp_eq_u32_e32 vcc_lo, 0, v2
	s_cbranch_vccnz .LBB57_7
.LBB57_8:                               ;   in Loop: Header=BB57_3 Depth=1
	s_wait_xcnt 0x0
	s_or_b32 exec_lo, exec_lo, s33
	global_wb scope:SCOPE_DEV
	s_wait_storecnt 0x0
	global_inv scope:SCOPE_DEV
	s_wait_loadcnt 0x0
	s_barrier_signal -1
	s_barrier_wait -1
	s_and_saveexec_b32 s8, s1
	s_cbranch_execz .LBB57_17
; %bb.9:                                ;   in Loop: Header=BB57_3 Depth=1
	v_mad_u32 v10, s30, s29, v1
	v_dual_mov_b32 v11, v8 :: v_dual_mov_b32 v12, v7
	s_mul_i32 s9, s23, s18
	s_mov_b32 s33, 0
	s_branch .LBB57_11
.LBB57_10:                              ;   in Loop: Header=BB57_11 Depth=2
	v_dual_add_nc_u32 v13, s7, v12 :: v_dual_add_nc_u32 v12, 8, v12
	v_add_nc_u32_e32 v11, s31, v11
	s_delay_alu instid0(VALU_DEP_2) | instskip(NEXT) | instid1(VALU_DEP_3)
	v_mad_u32 v13, v13, s22, v1
	v_cmp_le_i32_e32 vcc_lo, s18, v12
	s_or_b32 s33, vcc_lo, s33
	global_load_b128 v[14:17], v13, s[20:21] scale_offset
	s_wait_loadcnt 0x0
	v_add_f64_e64 v[14:15], v[14:15], -v[4:5]
	v_add_f64_e64 v[16:17], v[16:17], -v[2:3]
	global_store_b128 v13, v[14:17], s[20:21] scale_offset
	s_wait_xcnt 0x0
	s_and_not1_b32 exec_lo, exec_lo, s33
	s_cbranch_execz .LBB57_17
.LBB57_11:                              ;   Parent Loop BB57_3 Depth=1
                                        ; =>  This Loop Header: Depth=2
                                        ;       Child Loop BB57_13 Depth 3
	v_mov_b64_e32 v[2:3], 0
	v_mov_b64_e32 v[4:5], 0
	s_delay_alu instid0(VALU_DEP_4)
	v_mov_b32_e32 v13, v10
	s_mov_b32 s34, 0
	s_branch .LBB57_13
.LBB57_12:                              ;   in Loop: Header=BB57_13 Depth=3
	global_load_b128 v[16:19], v14, s[16:17] scale_offset
	global_load_b128 v[20:23], v13, s[20:21] scale_offset
	s_add_co_i32 s34, s34, 1
	s_wait_xcnt 0x0
	v_add_nc_u32_e32 v13, s22, v13
	s_cmp_eq_u32 s18, s34
	s_wait_loadcnt 0x0
	v_fmac_f64_e32 v[4:5], v[16:17], v[20:21]
	v_fmac_f64_e32 v[2:3], v[18:19], v[20:21]
	s_delay_alu instid0(VALU_DEP_2) | instskip(NEXT) | instid1(VALU_DEP_2)
	v_fma_f64 v[4:5], -v[18:19], v[22:23], v[4:5]
	v_fmac_f64_e32 v[2:3], v[16:17], v[22:23]
	s_cbranch_scc1 .LBB57_10
.LBB57_13:                              ;   Parent Loop BB57_3 Depth=1
                                        ;     Parent Loop BB57_11 Depth=2
                                        ; =>    This Inner Loop Header: Depth=3
	s_and_b32 vcc_lo, exec_lo, s28
	s_cbranch_vccz .LBB57_15
; %bb.14:                               ;   in Loop: Header=BB57_13 Depth=3
	s_add_co_i32 s35, s34, s9
	s_delay_alu instid0(SALU_CYCLE_1)
	v_mad_u32 v14, s35, s18, v12
	s_cbranch_execnz .LBB57_12
	s_branch .LBB57_16
.LBB57_15:                              ;   in Loop: Header=BB57_13 Depth=3
                                        ; implicit-def: $vgpr14
.LBB57_16:                              ;   in Loop: Header=BB57_13 Depth=3
	v_add_nc_u32_e32 v14, s34, v11
	s_branch .LBB57_12
.LBB57_17:                              ;   in Loop: Header=BB57_3 Depth=1
	s_or_b32 exec_lo, exec_lo, s8
	s_add_co_i32 s23, s23, 1
	v_add_nc_u32_e32 v8, s26, v8
	s_cmp_ge_i32 s23, s27
	s_cselect_b32 s8, -1, 0
	s_delay_alu instid0(SALU_CYCLE_1)
	s_and_b32 vcc_lo, exec_lo, s8
	s_cbranch_vccz .LBB57_3
	s_branch .LBB57_19
.LBB57_18:
	s_mov_b32 s29, s24
.LBB57_19:
	s_cmp_lt_i32 s6, s24
	v_cmp_gt_i32_e32 vcc_lo, s25, v1
	s_cselect_b32 s1, -1, 0
	s_cmp_eq_u32 s6, s29
	s_cselect_b32 s0, -1, 0
	s_delay_alu instid0(SALU_CYCLE_1) | instskip(SKIP_2) | instid1(SALU_CYCLE_1)
	s_and_b32 s0, vcc_lo, s0
	s_cmp_gt_i32 s18, 0
	s_cselect_b32 s8, -1, 0
	s_and_b32 s8, s0, s8
	s_mov_b32 s0, 0
	s_and_b32 s9, s8, s1
	s_wait_xcnt 0x0
	s_and_saveexec_b32 s8, s9
	s_cbranch_execz .LBB57_35
; %bb.20:
	v_dual_add_nc_u32 v2, s7, v7 :: v_dual_add_nc_u32 v12, 1, v7
	s_cmp_eq_u32 s13, 0
	s_mov_b32 s9, 0
	s_cselect_b32 s10, -1, 0
	s_delay_alu instid0(VALU_DEP_1)
	v_mad_u32 v2, s22, v2, s22
	s_cmp_lg_u32 s14, 0
	s_mul_i32 s11, s23, s18
	s_cselect_b32 s13, -1, 0
	s_lshl_b32 s14, s22, 3
	s_mov_b32 s24, 0
	s_delay_alu instid0(VALU_DEP_1)
	v_add3_u32 v13, v6, v2, s19
	s_mul_i32 s19, s23, s26
	s_add_co_i32 s23, s18, 1
	s_branch .LBB57_22
.LBB57_21:                              ;   in Loop: Header=BB57_22 Depth=1
	s_or_b32 exec_lo, exec_lo, s0
	v_add_nc_u32_e32 v13, s22, v13
	s_add_co_i32 s9, s9, 1
	s_add_co_i32 s19, s19, s23
	s_cmp_eq_u32 s9, s18
	s_cbranch_scc1 .LBB57_34
.LBB57_22:                              ; =>This Loop Header: Depth=1
                                        ;     Child Loop BB57_30 Depth 2
	s_and_not1_b32 vcc_lo, exec_lo, s10
	s_cbranch_vccz .LBB57_24
; %bb.23:                               ;   in Loop: Header=BB57_22 Depth=1
	v_mov_b64_e32 v[8:9], 0
	v_mov_b64_e32 v[6:7], 1.0
	s_branch .LBB57_25
.LBB57_24:                              ;   in Loop: Header=BB57_22 Depth=1
	s_add_co_i32 s0, s9, s11
	s_delay_alu instid0(SALU_CYCLE_1) | instskip(NEXT) | instid1(SALU_CYCLE_1)
	s_mul_i32 s0, s0, s18
	s_add_co_i32 s0, s0, s9
	s_wait_loadcnt 0x0
	v_mov_b32_e32 v2, s0
	global_load_b128 v[6:9], v2, s[16:17] scale_offset
.LBB57_25:                              ;   in Loop: Header=BB57_22 Depth=1
	s_add_co_i32 s0, s9, s7
	s_wait_loadcnt 0x0
	s_delay_alu instid0(VALU_DEP_1) | instskip(SKIP_4) | instid1(SALU_CYCLE_1)
	v_cmp_eq_f64_e32 vcc_lo, 0, v[6:7]
	v_mad_u32 v10, s0, s22, v1
	v_cmp_eq_f64_e64 s0, 0, v[8:9]
	global_load_b128 v[2:5], v10, s[20:21] scale_offset
	s_and_b32 s0, vcc_lo, s0
	s_and_b32 vcc_lo, exec_lo, s0
	s_cbranch_vccnz .LBB57_27
; %bb.26:                               ;   in Loop: Header=BB57_22 Depth=1
	v_dual_mul_f64 v[14:15], v[8:9], v[8:9] :: v_dual_ashrrev_i32 v11, 31, v10
	s_wait_xcnt 0x0
	s_delay_alu instid0(VALU_DEP_1) | instskip(NEXT) | instid1(VALU_DEP_2)
	v_lshl_add_u64 v[10:11], v[10:11], 4, s[20:21]
	v_fmac_f64_e32 v[14:15], v[6:7], v[6:7]
	s_delay_alu instid0(VALU_DEP_1) | instskip(SKIP_1) | instid1(VALU_DEP_2)
	v_div_scale_f64 v[16:17], null, v[14:15], v[14:15], 1.0
	v_div_scale_f64 v[22:23], vcc_lo, 1.0, v[14:15], 1.0
	v_rcp_f64_e32 v[18:19], v[16:17]
	v_nop
	s_delay_alu instid0(TRANS32_DEP_1) | instskip(NEXT) | instid1(VALU_DEP_1)
	v_fma_f64 v[20:21], -v[16:17], v[18:19], 1.0
	v_fmac_f64_e32 v[18:19], v[18:19], v[20:21]
	s_delay_alu instid0(VALU_DEP_1) | instskip(NEXT) | instid1(VALU_DEP_1)
	v_fma_f64 v[20:21], -v[16:17], v[18:19], 1.0
	v_fmac_f64_e32 v[18:19], v[18:19], v[20:21]
	s_delay_alu instid0(VALU_DEP_1) | instskip(NEXT) | instid1(VALU_DEP_1)
	v_mul_f64_e32 v[20:21], v[22:23], v[18:19]
	v_fma_f64 v[16:17], -v[16:17], v[20:21], v[22:23]
	s_wait_loadcnt 0x0
	v_mul_f64_e64 v[22:23], v[8:9], -v[2:3]
	s_delay_alu instid0(VALU_DEP_2) | instskip(SKIP_1) | instid1(VALU_DEP_3)
	v_div_fmas_f64 v[16:17], v[16:17], v[18:19], v[20:21]
	v_mul_f64_e32 v[18:19], v[8:9], v[4:5]
	v_fmac_f64_e32 v[22:23], v[4:5], v[6:7]
	s_delay_alu instid0(VALU_DEP_3) | instskip(NEXT) | instid1(VALU_DEP_3)
	v_div_fixup_f64 v[4:5], v[16:17], v[14:15], 1.0
	v_fmac_f64_e32 v[18:19], v[2:3], v[6:7]
	s_delay_alu instid0(VALU_DEP_2) | instskip(NEXT) | instid1(VALU_DEP_2)
	v_mul_f64_e32 v[8:9], v[4:5], v[22:23]
	v_mul_f64_e32 v[6:7], v[4:5], v[18:19]
	s_delay_alu instid0(VALU_DEP_2) | instskip(NEXT) | instid1(VALU_DEP_2)
	v_mov_b64_e32 v[4:5], v[8:9]
	v_mov_b64_e32 v[2:3], v[6:7]
	global_store_b128 v[10:11], v[6:9], off
	s_wait_xcnt 0x0
	v_add_nc_u32_e32 v6, s9, v12
	s_mov_b32 s0, exec_lo
	s_delay_alu instid0(VALU_DEP_1)
	v_cmpx_gt_i32_e64 s18, v6
	s_cbranch_execz .LBB57_21
	s_branch .LBB57_28
.LBB57_27:                              ;   in Loop: Header=BB57_22 Depth=1
	s_mov_b32 s24, -1
	v_add_nc_u32_e32 v6, s9, v12
	s_mov_b32 s0, exec_lo
	s_wait_xcnt 0x0
	s_delay_alu instid0(VALU_DEP_1)
	v_cmpx_gt_i32_e64 s18, v6
	s_cbranch_execz .LBB57_21
.LBB57_28:                              ;   in Loop: Header=BB57_22 Depth=1
	v_dual_mov_b32 v7, v13 :: v_dual_mov_b32 v8, v12
	s_mov_b32 s25, 0
	s_branch .LBB57_30
.LBB57_29:                              ;   in Loop: Header=BB57_30 Depth=2
	global_load_b128 v[14:17], v9, s[16:17] scale_offset
	global_load_b128 v[18:21], v7, s[20:21] scale_offset
	v_dual_add_nc_u32 v6, 8, v6 :: v_dual_add_nc_u32 v8, 8, v8
	s_wait_xcnt 0x1
	s_delay_alu instid0(VALU_DEP_1) | instskip(NEXT) | instid1(VALU_DEP_1)
	v_add_nc_u32_e32 v9, s9, v8
	v_cmp_le_i32_e32 vcc_lo, s18, v9
	s_or_b32 s25, vcc_lo, s25
	s_wait_loadcnt 0x1
	v_mul_f64_e64 v[10:11], v[16:17], -v[4:5]
	v_mul_f64_e32 v[16:17], v[2:3], v[16:17]
	s_delay_alu instid0(VALU_DEP_2) | instskip(NEXT) | instid1(VALU_DEP_2)
	v_fmac_f64_e32 v[10:11], v[2:3], v[14:15]
	v_fmac_f64_e32 v[16:17], v[4:5], v[14:15]
	s_wait_loadcnt 0x0
	s_delay_alu instid0(VALU_DEP_2) | instskip(NEXT) | instid1(VALU_DEP_2)
	v_add_f64_e64 v[14:15], v[18:19], -v[10:11]
	v_add_f64_e64 v[16:17], v[20:21], -v[16:17]
	global_store_b128 v7, v[14:17], s[20:21] scale_offset
	s_wait_xcnt 0x0
	v_add_nc_u32_e32 v7, s14, v7
	s_and_not1_b32 exec_lo, exec_lo, s25
	s_cbranch_execz .LBB57_21
.LBB57_30:                              ;   Parent Loop BB57_22 Depth=1
                                        ; =>  This Inner Loop Header: Depth=2
	s_and_b32 vcc_lo, exec_lo, s13
	s_cbranch_vccz .LBB57_32
; %bb.31:                               ;   in Loop: Header=BB57_30 Depth=2
	v_add_nc_u32_e32 v9, s19, v8
	s_cbranch_execnz .LBB57_29
	s_branch .LBB57_33
.LBB57_32:                              ;   in Loop: Header=BB57_30 Depth=2
                                        ; implicit-def: $vgpr9
.LBB57_33:                              ;   in Loop: Header=BB57_30 Depth=2
	v_add_nc_u32_e32 v9, s11, v6
	s_delay_alu instid0(VALU_DEP_1)
	v_mad_u32 v9, v9, s18, s9
	s_branch .LBB57_29
.LBB57_34:
	s_and_b32 s0, s24, exec_lo
.LBB57_35:
	s_or_b32 exec_lo, exec_lo, s8
	v_cmp_eq_u32_e32 vcc_lo, 0, v0
	global_wb scope:SCOPE_DEV
	s_wait_loadcnt 0x0
	s_wait_storecnt 0x0
	global_inv scope:SCOPE_DEV
	s_wait_loadcnt 0x0
	s_barrier_signal -1
	s_barrier_wait -1
	s_and_b32 s1, vcc_lo, s1
	s_delay_alu instid0(SALU_CYCLE_1)
	s_and_saveexec_b32 s7, s1
	s_cbranch_execz .LBB57_39
; %bb.36:
	s_add_co_i32 s1, s6, s15
	s_delay_alu instid0(SALU_CYCLE_1)
	v_dual_mov_b32 v0, 1 :: v_dual_mov_b32 v1, s1
	global_store_b32 v1, v0, s[4:5] scale_offset scope:SCOPE_DEV
	s_wait_xcnt 0x0
	s_and_b32 exec_lo, exec_lo, s0
	s_cbranch_execz .LBB57_39
; %bb.37:
	v_mbcnt_lo_u32_b32 v0, exec_lo, 0
	s_delay_alu instid0(VALU_DEP_1)
	v_cmp_eq_u32_e32 vcc_lo, 0, v0
	s_and_b32 exec_lo, exec_lo, vcc_lo
	s_cbranch_execz .LBB57_39
; %bb.38:
	s_add_co_i32 s0, s6, s12
	s_delay_alu instid0(SALU_CYCLE_1)
	v_dual_mov_b32 v0, 0 :: v_dual_mov_b32 v1, s0
	global_atomic_min_i32 v0, v1, s[2:3] scope:SCOPE_DEV
.LBB57_39:
	s_endpgm
	.section	.rodata,"a",@progbits
	.p2align	6, 0x0
	.amdhsa_kernel _ZN9rocsparseL24bsrsm_lower_large_kernelILj128ELj16ELb0E21rocsparse_complex_numIdEEEviiPKiS4_PKT2_iPS5_iPiS4_S9_21rocsparse_index_base_20rocsparse_diag_type_20rocsparse_direction_
		.amdhsa_group_segment_fixed_size 0
		.amdhsa_private_segment_fixed_size 0
		.amdhsa_kernarg_size 92
		.amdhsa_user_sgpr_count 2
		.amdhsa_user_sgpr_dispatch_ptr 0
		.amdhsa_user_sgpr_queue_ptr 0
		.amdhsa_user_sgpr_kernarg_segment_ptr 1
		.amdhsa_user_sgpr_dispatch_id 0
		.amdhsa_user_sgpr_kernarg_preload_length 0
		.amdhsa_user_sgpr_kernarg_preload_offset 0
		.amdhsa_user_sgpr_private_segment_size 0
		.amdhsa_wavefront_size32 1
		.amdhsa_uses_dynamic_stack 0
		.amdhsa_enable_private_segment 0
		.amdhsa_system_sgpr_workgroup_id_x 1
		.amdhsa_system_sgpr_workgroup_id_y 0
		.amdhsa_system_sgpr_workgroup_id_z 0
		.amdhsa_system_sgpr_workgroup_info 0
		.amdhsa_system_vgpr_workitem_id 0
		.amdhsa_next_free_vgpr 24
		.amdhsa_next_free_sgpr 36
		.amdhsa_named_barrier_count 0
		.amdhsa_reserve_vcc 1
		.amdhsa_float_round_mode_32 0
		.amdhsa_float_round_mode_16_64 0
		.amdhsa_float_denorm_mode_32 3
		.amdhsa_float_denorm_mode_16_64 3
		.amdhsa_fp16_overflow 0
		.amdhsa_memory_ordered 1
		.amdhsa_forward_progress 1
		.amdhsa_inst_pref_size 14
		.amdhsa_round_robin_scheduling 0
		.amdhsa_exception_fp_ieee_invalid_op 0
		.amdhsa_exception_fp_denorm_src 0
		.amdhsa_exception_fp_ieee_div_zero 0
		.amdhsa_exception_fp_ieee_overflow 0
		.amdhsa_exception_fp_ieee_underflow 0
		.amdhsa_exception_fp_ieee_inexact 0
		.amdhsa_exception_int_div_zero 0
	.end_amdhsa_kernel
	.section	.text._ZN9rocsparseL24bsrsm_lower_large_kernelILj128ELj16ELb0E21rocsparse_complex_numIdEEEviiPKiS4_PKT2_iPS5_iPiS4_S9_21rocsparse_index_base_20rocsparse_diag_type_20rocsparse_direction_,"axG",@progbits,_ZN9rocsparseL24bsrsm_lower_large_kernelILj128ELj16ELb0E21rocsparse_complex_numIdEEEviiPKiS4_PKT2_iPS5_iPiS4_S9_21rocsparse_index_base_20rocsparse_diag_type_20rocsparse_direction_,comdat
.Lfunc_end57:
	.size	_ZN9rocsparseL24bsrsm_lower_large_kernelILj128ELj16ELb0E21rocsparse_complex_numIdEEEviiPKiS4_PKT2_iPS5_iPiS4_S9_21rocsparse_index_base_20rocsparse_diag_type_20rocsparse_direction_, .Lfunc_end57-_ZN9rocsparseL24bsrsm_lower_large_kernelILj128ELj16ELb0E21rocsparse_complex_numIdEEEviiPKiS4_PKT2_iPS5_iPiS4_S9_21rocsparse_index_base_20rocsparse_diag_type_20rocsparse_direction_
                                        ; -- End function
	.set _ZN9rocsparseL24bsrsm_lower_large_kernelILj128ELj16ELb0E21rocsparse_complex_numIdEEEviiPKiS4_PKT2_iPS5_iPiS4_S9_21rocsparse_index_base_20rocsparse_diag_type_20rocsparse_direction_.num_vgpr, 24
	.set _ZN9rocsparseL24bsrsm_lower_large_kernelILj128ELj16ELb0E21rocsparse_complex_numIdEEEviiPKiS4_PKT2_iPS5_iPiS4_S9_21rocsparse_index_base_20rocsparse_diag_type_20rocsparse_direction_.num_agpr, 0
	.set _ZN9rocsparseL24bsrsm_lower_large_kernelILj128ELj16ELb0E21rocsparse_complex_numIdEEEviiPKiS4_PKT2_iPS5_iPiS4_S9_21rocsparse_index_base_20rocsparse_diag_type_20rocsparse_direction_.numbered_sgpr, 36
	.set _ZN9rocsparseL24bsrsm_lower_large_kernelILj128ELj16ELb0E21rocsparse_complex_numIdEEEviiPKiS4_PKT2_iPS5_iPiS4_S9_21rocsparse_index_base_20rocsparse_diag_type_20rocsparse_direction_.num_named_barrier, 0
	.set _ZN9rocsparseL24bsrsm_lower_large_kernelILj128ELj16ELb0E21rocsparse_complex_numIdEEEviiPKiS4_PKT2_iPS5_iPiS4_S9_21rocsparse_index_base_20rocsparse_diag_type_20rocsparse_direction_.private_seg_size, 0
	.set _ZN9rocsparseL24bsrsm_lower_large_kernelILj128ELj16ELb0E21rocsparse_complex_numIdEEEviiPKiS4_PKT2_iPS5_iPiS4_S9_21rocsparse_index_base_20rocsparse_diag_type_20rocsparse_direction_.uses_vcc, 1
	.set _ZN9rocsparseL24bsrsm_lower_large_kernelILj128ELj16ELb0E21rocsparse_complex_numIdEEEviiPKiS4_PKT2_iPS5_iPiS4_S9_21rocsparse_index_base_20rocsparse_diag_type_20rocsparse_direction_.uses_flat_scratch, 0
	.set _ZN9rocsparseL24bsrsm_lower_large_kernelILj128ELj16ELb0E21rocsparse_complex_numIdEEEviiPKiS4_PKT2_iPS5_iPiS4_S9_21rocsparse_index_base_20rocsparse_diag_type_20rocsparse_direction_.has_dyn_sized_stack, 0
	.set _ZN9rocsparseL24bsrsm_lower_large_kernelILj128ELj16ELb0E21rocsparse_complex_numIdEEEviiPKiS4_PKT2_iPS5_iPiS4_S9_21rocsparse_index_base_20rocsparse_diag_type_20rocsparse_direction_.has_recursion, 0
	.set _ZN9rocsparseL24bsrsm_lower_large_kernelILj128ELj16ELb0E21rocsparse_complex_numIdEEEviiPKiS4_PKT2_iPS5_iPiS4_S9_21rocsparse_index_base_20rocsparse_diag_type_20rocsparse_direction_.has_indirect_call, 0
	.section	.AMDGPU.csdata,"",@progbits
; Kernel info:
; codeLenInByte = 1776
; TotalNumSgprs: 38
; NumVgprs: 24
; ScratchSize: 0
; MemoryBound: 0
; FloatMode: 240
; IeeeMode: 1
; LDSByteSize: 0 bytes/workgroup (compile time only)
; SGPRBlocks: 0
; VGPRBlocks: 1
; NumSGPRsForWavesPerEU: 38
; NumVGPRsForWavesPerEU: 24
; NamedBarCnt: 0
; Occupancy: 16
; WaveLimiterHint : 1
; COMPUTE_PGM_RSRC2:SCRATCH_EN: 0
; COMPUTE_PGM_RSRC2:USER_SGPR: 2
; COMPUTE_PGM_RSRC2:TRAP_HANDLER: 0
; COMPUTE_PGM_RSRC2:TGID_X_EN: 1
; COMPUTE_PGM_RSRC2:TGID_Y_EN: 0
; COMPUTE_PGM_RSRC2:TGID_Z_EN: 0
; COMPUTE_PGM_RSRC2:TIDIG_COMP_CNT: 0
	.section	.text._ZN9rocsparseL24bsrsm_upper_large_kernelILj256ELj16ELb0E21rocsparse_complex_numIdEEEviiPKiS4_PKT2_iPS5_iPiS4_S9_21rocsparse_index_base_20rocsparse_diag_type_20rocsparse_direction_,"axG",@progbits,_ZN9rocsparseL24bsrsm_upper_large_kernelILj256ELj16ELb0E21rocsparse_complex_numIdEEEviiPKiS4_PKT2_iPS5_iPiS4_S9_21rocsparse_index_base_20rocsparse_diag_type_20rocsparse_direction_,comdat
	.globl	_ZN9rocsparseL24bsrsm_upper_large_kernelILj256ELj16ELb0E21rocsparse_complex_numIdEEEviiPKiS4_PKT2_iPS5_iPiS4_S9_21rocsparse_index_base_20rocsparse_diag_type_20rocsparse_direction_ ; -- Begin function _ZN9rocsparseL24bsrsm_upper_large_kernelILj256ELj16ELb0E21rocsparse_complex_numIdEEEviiPKiS4_PKT2_iPS5_iPiS4_S9_21rocsparse_index_base_20rocsparse_diag_type_20rocsparse_direction_
	.p2align	8
	.type	_ZN9rocsparseL24bsrsm_upper_large_kernelILj256ELj16ELb0E21rocsparse_complex_numIdEEEviiPKiS4_PKT2_iPS5_iPiS4_S9_21rocsparse_index_base_20rocsparse_diag_type_20rocsparse_direction_,@function
_ZN9rocsparseL24bsrsm_upper_large_kernelILj256ELj16ELb0E21rocsparse_complex_numIdEEEviiPKiS4_PKT2_iPS5_iPiS4_S9_21rocsparse_index_base_20rocsparse_diag_type_20rocsparse_direction_: ; @_ZN9rocsparseL24bsrsm_upper_large_kernelILj256ELj16ELb0E21rocsparse_complex_numIdEEEviiPKiS4_PKT2_iPS5_iPiS4_S9_21rocsparse_index_base_20rocsparse_diag_type_20rocsparse_direction_
; %bb.0:
	s_clause 0x1
	s_load_b64 s[24:25], s[0:1], 0x0
	s_load_b128 s[8:11], s[0:1], 0x8
	s_bfe_u32 s4, ttmp6, 0x4000c
	s_and_b32 s3, ttmp6, 15
	s_add_co_i32 s4, s4, 1
	s_getreg_b32 s5, hwreg(HW_REG_IB_STS2, 6, 4)
	s_mul_i32 s4, ttmp9, s4
	v_dual_lshrrev_b32 v6, 4, v0 :: v_dual_bitop2_b32 v12, 15, v0 bitop3:0x40
	s_add_co_i32 s3, s3, s4
	s_wait_kmcnt 0x0
	s_cvt_f32_u32 s2, s24
	s_sub_co_i32 s6, 0, s24
	s_delay_alu instid0(SALU_CYCLE_2) | instskip(SKIP_1) | instid1(TRANS32_DEP_1)
	v_rcp_iflag_f32_e32 v1, s2
	v_nop
	v_readfirstlane_b32 s2, v1
	s_mul_f32 s2, s2, 0x4f7ffffe
	s_delay_alu instid0(SALU_CYCLE_3) | instskip(NEXT) | instid1(SALU_CYCLE_3)
	s_cvt_u32_f32 s2, s2
	s_mul_i32 s6, s6, s2
	s_delay_alu instid0(SALU_CYCLE_1) | instskip(NEXT) | instid1(SALU_CYCLE_1)
	s_mul_hi_u32 s6, s2, s6
	s_add_co_i32 s2, s2, s6
	s_cmp_eq_u32 s5, 0
	s_load_b128 s[4:7], s[0:1], 0x38
	s_cselect_b32 s3, ttmp9, s3
	s_delay_alu instid0(SALU_CYCLE_1) | instskip(NEXT) | instid1(SALU_CYCLE_1)
	s_mul_hi_u32 s2, s3, s2
	s_mul_i32 s12, s2, s24
	s_add_co_i32 s13, s2, 1
	s_sub_co_i32 s12, s3, s12
	s_delay_alu instid0(SALU_CYCLE_1)
	s_sub_co_i32 s14, s12, s24
	s_cmp_ge_u32 s12, s24
	s_cselect_b32 s2, s13, s2
	s_cselect_b32 s12, s14, s12
	s_add_co_i32 s13, s2, 1
	s_cmp_ge_u32 s12, s24
	s_cselect_b32 s19, s13, s2
	s_delay_alu instid0(SALU_CYCLE_1) | instskip(SKIP_4) | instid1(SALU_CYCLE_1)
	s_mul_i32 s15, s19, s24
	s_lshl_b32 s19, s19, 4
	s_sub_co_i32 s2, s3, s15
	v_or_b32_e32 v1, s19, v6
	s_ashr_i32 s3, s2, 31
	s_lshl_b64 s[12:13], s[2:3], 2
	s_load_b64 s[2:3], s[0:1], 0x48
	s_wait_kmcnt 0x0
	s_add_nc_u64 s[6:7], s[6:7], s[12:13]
	s_load_b96 s[12:14], s[0:1], 0x50
	v_cmp_gt_i32_e32 vcc_lo, s25, v1
	s_load_b32 s6, s[6:7], 0x0
	s_wait_kmcnt 0x0
	s_ashr_i32 s7, s6, 31
	s_delay_alu instid0(SALU_CYCLE_1) | instskip(NEXT) | instid1(SALU_CYCLE_1)
	s_lshl_b64 s[16:17], s[6:7], 2
	s_add_nc_u64 s[8:9], s[8:9], s[16:17]
	s_load_b64 s[26:27], s[8:9], 0x0
	s_clause 0x1
	s_load_b96 s[16:18], s[0:1], 0x18
	s_load_b96 s[20:22], s[0:1], 0x28
	s_wait_xcnt 0x0
	s_not_b32 s0, s12
	s_wait_kmcnt 0x0
	s_add_co_i32 s23, s27, s0
	v_cmp_eq_u32_e64 s0, 0, v0
	s_sub_co_i32 s26, s26, s12
	s_mul_i32 s7, s6, s18
	s_cmp_lt_i32 s23, s26
	s_cbranch_scc1 .LBB58_18
; %bb.1:
	v_mad_u32 v2, s18, s23, v12
	v_cmp_gt_i32_e64 s1, s18, v12
	v_mov_b32_e32 v8, 0
	s_cmp_lg_u32 s14, 0
	s_mul_i32 s29, s22, s18
	s_cselect_b32 s27, -1, 0
	s_and_b32 s1, vcc_lo, s1
	s_mul_i32 s30, s18, s18
	s_lshl_b32 s31, s18, 4
	v_mul_lo_u32 v7, s18, v2
	s_branch .LBB58_3
.LBB58_2:                               ;   in Loop: Header=BB58_3 Depth=1
                                        ; implicit-def: $vgpr7
	s_cbranch_execnz .LBB58_19
.LBB58_3:                               ; =>This Loop Header: Depth=1
                                        ;     Child Loop BB58_7 Depth 2
                                        ;     Child Loop BB58_11 Depth 2
                                        ;       Child Loop BB58_13 Depth 3
	s_wait_xcnt 0x0
	v_mov_b32_e32 v2, s23
	global_load_b32 v2, v2, s[10:11] scale_offset
	s_wait_loadcnt 0x0
	v_readfirstlane_b32 s8, v2
	s_sub_co_i32 s28, s8, s12
	s_delay_alu instid0(SALU_CYCLE_1)
	s_cmp_le_i32 s28, s6
	s_cbranch_scc1 .LBB58_2
; %bb.4:                                ;   in Loop: Header=BB58_3 Depth=1
	s_wait_xcnt 0x0
	s_and_saveexec_b32 s33, s0
	s_cbranch_execz .LBB58_8
; %bb.5:                                ;   in Loop: Header=BB58_3 Depth=1
	s_add_co_i32 s8, s28, s15
	s_delay_alu instid0(SALU_CYCLE_1)
	v_mov_b32_e32 v2, s8
	global_load_b32 v2, v2, s[4:5] scale_offset scope:SCOPE_DEV
	s_wait_loadcnt 0x0
	v_cmp_ne_u32_e32 vcc_lo, 0, v2
	s_cbranch_vccnz .LBB58_8
; %bb.6:                                ;   in Loop: Header=BB58_3 Depth=1
	s_ashr_i32 s9, s8, 31
	s_delay_alu instid0(SALU_CYCLE_1) | instskip(NEXT) | instid1(SALU_CYCLE_1)
	s_lshl_b64 s[8:9], s[8:9], 2
	s_add_nc_u64 s[8:9], s[4:5], s[8:9]
.LBB58_7:                               ;   Parent Loop BB58_3 Depth=1
                                        ; =>  This Inner Loop Header: Depth=2
	global_load_b32 v2, v8, s[8:9] scope:SCOPE_DEV
	s_wait_loadcnt 0x0
	v_cmp_eq_u32_e32 vcc_lo, 0, v2
	s_cbranch_vccnz .LBB58_7
.LBB58_8:                               ;   in Loop: Header=BB58_3 Depth=1
	s_wait_xcnt 0x0
	s_or_b32 exec_lo, exec_lo, s33
	global_wb scope:SCOPE_DEV
	s_wait_storecnt 0x0
	global_inv scope:SCOPE_DEV
	s_wait_loadcnt 0x0
	s_barrier_signal -1
	s_barrier_wait -1
	s_and_saveexec_b32 s8, s1
	s_cbranch_execz .LBB58_17
; %bb.9:                                ;   in Loop: Header=BB58_3 Depth=1
	v_mad_u32 v9, s29, s28, v1
	v_dual_mov_b32 v10, v7 :: v_dual_mov_b32 v11, v12
	s_mul_i32 s9, s23, s18
	s_mov_b32 s33, 0
	s_branch .LBB58_11
.LBB58_10:                              ;   in Loop: Header=BB58_11 Depth=2
	v_dual_add_nc_u32 v13, s7, v11 :: v_dual_add_nc_u32 v11, 16, v11
	v_add_nc_u32_e32 v10, s31, v10
	s_delay_alu instid0(VALU_DEP_2) | instskip(NEXT) | instid1(VALU_DEP_3)
	v_mad_u32 v13, v13, s22, v1
	v_cmp_le_i32_e32 vcc_lo, s18, v11
	s_or_b32 s33, vcc_lo, s33
	global_load_b128 v[14:17], v13, s[20:21] scale_offset
	s_wait_loadcnt 0x0
	v_add_f64_e64 v[14:15], v[14:15], -v[4:5]
	v_add_f64_e64 v[16:17], v[16:17], -v[2:3]
	global_store_b128 v13, v[14:17], s[20:21] scale_offset
	s_wait_xcnt 0x0
	s_and_not1_b32 exec_lo, exec_lo, s33
	s_cbranch_execz .LBB58_17
.LBB58_11:                              ;   Parent Loop BB58_3 Depth=1
                                        ; =>  This Loop Header: Depth=2
                                        ;       Child Loop BB58_13 Depth 3
	v_mov_b64_e32 v[2:3], 0
	v_mov_b64_e32 v[4:5], 0
	s_delay_alu instid0(VALU_DEP_4)
	v_mov_b32_e32 v13, v9
	s_mov_b32 s34, 0
	s_branch .LBB58_13
.LBB58_12:                              ;   in Loop: Header=BB58_13 Depth=3
	global_load_b128 v[16:19], v14, s[16:17] scale_offset
	global_load_b128 v[20:23], v13, s[20:21] scale_offset
	s_add_co_i32 s34, s34, 1
	s_wait_xcnt 0x0
	v_add_nc_u32_e32 v13, s22, v13
	s_cmp_eq_u32 s18, s34
	s_wait_loadcnt 0x0
	v_fmac_f64_e32 v[4:5], v[16:17], v[20:21]
	v_fmac_f64_e32 v[2:3], v[18:19], v[20:21]
	s_delay_alu instid0(VALU_DEP_2) | instskip(NEXT) | instid1(VALU_DEP_2)
	v_fma_f64 v[4:5], -v[18:19], v[22:23], v[4:5]
	v_fmac_f64_e32 v[2:3], v[16:17], v[22:23]
	s_cbranch_scc1 .LBB58_10
.LBB58_13:                              ;   Parent Loop BB58_3 Depth=1
                                        ;     Parent Loop BB58_11 Depth=2
                                        ; =>    This Inner Loop Header: Depth=3
	s_and_b32 vcc_lo, exec_lo, s27
	s_cbranch_vccz .LBB58_15
; %bb.14:                               ;   in Loop: Header=BB58_13 Depth=3
	s_add_co_i32 s35, s34, s9
	s_delay_alu instid0(SALU_CYCLE_1)
	v_mad_u32 v14, s35, s18, v11
	s_cbranch_execnz .LBB58_12
	s_branch .LBB58_16
.LBB58_15:                              ;   in Loop: Header=BB58_13 Depth=3
                                        ; implicit-def: $vgpr14
.LBB58_16:                              ;   in Loop: Header=BB58_13 Depth=3
	v_add_nc_u32_e32 v14, s34, v10
	s_branch .LBB58_12
.LBB58_17:                              ;   in Loop: Header=BB58_3 Depth=1
	s_or_b32 exec_lo, exec_lo, s8
	s_add_co_i32 s9, s23, -1
	s_cmp_le_i32 s23, s26
	v_subrev_nc_u32_e32 v7, s30, v7
	s_cselect_b32 s8, -1, 0
	s_mov_b32 s23, s9
	s_and_b32 vcc_lo, exec_lo, s8
	s_cbranch_vccz .LBB58_3
	s_branch .LBB58_19
.LBB58_18:
	s_mov_b32 s28, s24
.LBB58_19:
	s_cmp_lt_i32 s6, s24
	v_cmp_gt_i32_e32 vcc_lo, s25, v1
	s_cselect_b32 s1, -1, 0
	s_cmp_eq_u32 s6, s28
	s_cselect_b32 s0, -1, 0
	s_delay_alu instid0(SALU_CYCLE_1) | instskip(SKIP_2) | instid1(SALU_CYCLE_1)
	s_and_b32 s0, vcc_lo, s0
	s_cmp_gt_i32 s18, 0
	s_cselect_b32 s8, -1, 0
	s_and_b32 s8, s0, s8
	s_mov_b32 s0, 0
	s_and_b32 s9, s8, s1
	s_wait_xcnt 0x0
	s_and_saveexec_b32 s8, s9
	s_cbranch_execz .LBB58_36
; %bb.20:
	v_add_nc_u32_e32 v2, s7, v12
	s_cmp_eq_u32 s13, 0
	s_mov_b32 s13, 0
	s_cselect_b32 s9, -1, 0
	s_cmp_lg_u32 s14, 0
	v_mul_lo_u32 v2, s22, v2
	s_cselect_b32 s10, -1, 0
	s_add_co_i32 s0, s23, 1
	s_mul_i32 s11, s23, s18
	s_mul_i32 s0, s18, s0
	s_lshl_b32 s14, s22, 4
	s_add_co_i32 s0, s0, -1
	s_mov_b32 s23, s18
	s_delay_alu instid0(VALU_DEP_1)
	v_add3_u32 v13, v6, v2, s19
	s_mul_i32 s19, s18, s0
	s_and_not1_b32 vcc_lo, exec_lo, s9
	s_add_co_i32 s24, s23, -1
	s_cbranch_vccz .LBB58_22
.LBB58_21:
	v_mov_b64_e32 v[8:9], 0
	v_mov_b64_e32 v[6:7], 1.0
	s_branch .LBB58_23
.LBB58_22:
	s_add_co_i32 s0, s24, s11
	s_delay_alu instid0(SALU_CYCLE_1) | instskip(NEXT) | instid1(SALU_CYCLE_1)
	s_mul_i32 s0, s0, s18
	s_add_co_i32 s0, s0, s24
	s_wait_loadcnt 0x0
	v_mov_b32_e32 v2, s0
	global_load_b128 v[6:9], v2, s[16:17] scale_offset
.LBB58_23:
	s_add_co_i32 s0, s24, s7
	s_wait_loadcnt 0x0
	s_delay_alu instid0(VALU_DEP_1) | instskip(SKIP_4) | instid1(SALU_CYCLE_1)
	v_cmp_eq_f64_e32 vcc_lo, 0, v[6:7]
	v_mad_u32 v10, s0, s22, v1
	v_cmp_eq_f64_e64 s0, 0, v[8:9]
	global_load_b128 v[2:5], v10, s[20:21] scale_offset
	s_and_b32 s0, vcc_lo, s0
	s_and_b32 vcc_lo, exec_lo, s0
	s_cbranch_vccnz .LBB58_25
; %bb.24:
	v_dual_mul_f64 v[14:15], v[8:9], v[8:9] :: v_dual_ashrrev_i32 v11, 31, v10
	s_wait_xcnt 0x0
	s_delay_alu instid0(VALU_DEP_1) | instskip(NEXT) | instid1(VALU_DEP_2)
	v_lshl_add_u64 v[10:11], v[10:11], 4, s[20:21]
	v_fmac_f64_e32 v[14:15], v[6:7], v[6:7]
	s_delay_alu instid0(VALU_DEP_1) | instskip(SKIP_1) | instid1(VALU_DEP_2)
	v_div_scale_f64 v[16:17], null, v[14:15], v[14:15], 1.0
	v_div_scale_f64 v[22:23], vcc_lo, 1.0, v[14:15], 1.0
	v_rcp_f64_e32 v[18:19], v[16:17]
	v_nop
	s_delay_alu instid0(TRANS32_DEP_1) | instskip(NEXT) | instid1(VALU_DEP_1)
	v_fma_f64 v[20:21], -v[16:17], v[18:19], 1.0
	v_fmac_f64_e32 v[18:19], v[18:19], v[20:21]
	s_delay_alu instid0(VALU_DEP_1) | instskip(NEXT) | instid1(VALU_DEP_1)
	v_fma_f64 v[20:21], -v[16:17], v[18:19], 1.0
	v_fmac_f64_e32 v[18:19], v[18:19], v[20:21]
	s_delay_alu instid0(VALU_DEP_1) | instskip(NEXT) | instid1(VALU_DEP_1)
	v_mul_f64_e32 v[20:21], v[22:23], v[18:19]
	v_fma_f64 v[16:17], -v[16:17], v[20:21], v[22:23]
	s_wait_loadcnt 0x0
	v_mul_f64_e64 v[22:23], v[8:9], -v[2:3]
	s_delay_alu instid0(VALU_DEP_2) | instskip(SKIP_1) | instid1(VALU_DEP_3)
	v_div_fmas_f64 v[16:17], v[16:17], v[18:19], v[20:21]
	v_mul_f64_e32 v[18:19], v[8:9], v[4:5]
	v_fmac_f64_e32 v[22:23], v[4:5], v[6:7]
	s_delay_alu instid0(VALU_DEP_3) | instskip(NEXT) | instid1(VALU_DEP_3)
	v_div_fixup_f64 v[4:5], v[16:17], v[14:15], 1.0
	v_fmac_f64_e32 v[18:19], v[2:3], v[6:7]
	s_delay_alu instid0(VALU_DEP_2) | instskip(NEXT) | instid1(VALU_DEP_2)
	v_mul_f64_e32 v[8:9], v[4:5], v[22:23]
	v_mul_f64_e32 v[6:7], v[4:5], v[18:19]
	s_delay_alu instid0(VALU_DEP_2) | instskip(NEXT) | instid1(VALU_DEP_2)
	v_mov_b64_e32 v[4:5], v[8:9]
	v_mov_b64_e32 v[2:3], v[6:7]
	global_store_b128 v[10:11], v[6:9], off
	s_mov_b32 s0, exec_lo
	s_wait_xcnt 0x0
	v_cmpx_gt_i32_e64 s24, v12
	s_cbranch_execnz .LBB58_26
	s_branch .LBB58_32
.LBB58_25:
	s_mov_b32 s13, -1
	s_mov_b32 s0, exec_lo
	s_wait_xcnt 0x0
	v_cmpx_gt_i32_e64 s24, v12
	s_cbranch_execz .LBB58_32
.LBB58_26:
	v_dual_mov_b32 v6, v13 :: v_dual_mov_b32 v7, v12
	s_mov_b32 s25, 0
	s_branch .LBB58_28
.LBB58_27:                              ;   in Loop: Header=BB58_28 Depth=1
	global_load_b128 v[14:17], v8, s[16:17] scale_offset
	global_load_b128 v[18:21], v6, s[20:21] scale_offset
	v_add_nc_u32_e32 v7, 16, v7
	s_delay_alu instid0(VALU_DEP_1)
	v_cmp_le_i32_e32 vcc_lo, s24, v7
	s_or_b32 s25, vcc_lo, s25
	s_wait_loadcnt 0x1
	s_wait_xcnt 0x1
	v_mul_f64_e64 v[8:9], v[16:17], -v[4:5]
	v_mul_f64_e32 v[10:11], v[2:3], v[16:17]
	s_delay_alu instid0(VALU_DEP_2) | instskip(NEXT) | instid1(VALU_DEP_2)
	v_fmac_f64_e32 v[8:9], v[2:3], v[14:15]
	v_fmac_f64_e32 v[10:11], v[4:5], v[14:15]
	s_wait_loadcnt 0x0
	s_delay_alu instid0(VALU_DEP_2) | instskip(NEXT) | instid1(VALU_DEP_2)
	v_add_f64_e64 v[8:9], v[18:19], -v[8:9]
	v_add_f64_e64 v[10:11], v[20:21], -v[10:11]
	global_store_b128 v6, v[8:11], s[20:21] scale_offset
	s_wait_xcnt 0x0
	v_add_nc_u32_e32 v6, s14, v6
	s_and_not1_b32 exec_lo, exec_lo, s25
	s_cbranch_execz .LBB58_32
.LBB58_28:                              ; =>This Inner Loop Header: Depth=1
	s_and_b32 vcc_lo, exec_lo, s10
	s_cbranch_vccz .LBB58_30
; %bb.29:                               ;   in Loop: Header=BB58_28 Depth=1
	v_add_nc_u32_e32 v8, s19, v7
	s_cbranch_execnz .LBB58_27
	s_branch .LBB58_31
.LBB58_30:                              ;   in Loop: Header=BB58_28 Depth=1
                                        ; implicit-def: $vgpr8
.LBB58_31:                              ;   in Loop: Header=BB58_28 Depth=1
	v_add_nc_u32_e32 v8, s11, v7
	s_delay_alu instid0(VALU_DEP_1)
	v_mad_u32 v8, v8, s18, s24
	s_branch .LBB58_27
.LBB58_32:
	s_or_b32 exec_lo, exec_lo, s0
; %bb.33:
	s_sub_co_i32 s19, s19, s18
	s_cmp_lt_i32 s23, 2
	s_cbranch_scc1 .LBB58_35
; %bb.34:
	s_mov_b32 s23, s24
	s_and_not1_b32 vcc_lo, exec_lo, s9
	s_add_co_i32 s24, s23, -1
	s_cbranch_vccnz .LBB58_21
	s_branch .LBB58_22
.LBB58_35:
	s_and_b32 s0, s13, exec_lo
.LBB58_36:
	s_or_b32 exec_lo, exec_lo, s8
	v_cmp_eq_u32_e32 vcc_lo, 0, v0
	global_wb scope:SCOPE_DEV
	s_wait_loadcnt 0x0
	s_wait_storecnt 0x0
	global_inv scope:SCOPE_DEV
	s_wait_loadcnt 0x0
	s_barrier_signal -1
	s_barrier_wait -1
	s_and_b32 s1, vcc_lo, s1
	s_delay_alu instid0(SALU_CYCLE_1)
	s_and_saveexec_b32 s7, s1
	s_cbranch_execz .LBB58_40
; %bb.37:
	s_add_co_i32 s1, s6, s15
	s_delay_alu instid0(SALU_CYCLE_1)
	v_dual_mov_b32 v0, 1 :: v_dual_mov_b32 v1, s1
	global_store_b32 v1, v0, s[4:5] scale_offset scope:SCOPE_DEV
	s_wait_xcnt 0x0
	s_and_b32 exec_lo, exec_lo, s0
	s_cbranch_execz .LBB58_40
; %bb.38:
	v_mbcnt_lo_u32_b32 v0, exec_lo, 0
	s_delay_alu instid0(VALU_DEP_1)
	v_cmp_eq_u32_e32 vcc_lo, 0, v0
	s_and_b32 exec_lo, exec_lo, vcc_lo
	s_cbranch_execz .LBB58_40
; %bb.39:
	s_add_co_i32 s0, s6, s12
	s_delay_alu instid0(SALU_CYCLE_1)
	v_dual_mov_b32 v0, 0 :: v_dual_mov_b32 v1, s0
	global_atomic_min_i32 v0, v1, s[2:3] scope:SCOPE_DEV
.LBB58_40:
	s_endpgm
	.section	.rodata,"a",@progbits
	.p2align	6, 0x0
	.amdhsa_kernel _ZN9rocsparseL24bsrsm_upper_large_kernelILj256ELj16ELb0E21rocsparse_complex_numIdEEEviiPKiS4_PKT2_iPS5_iPiS4_S9_21rocsparse_index_base_20rocsparse_diag_type_20rocsparse_direction_
		.amdhsa_group_segment_fixed_size 0
		.amdhsa_private_segment_fixed_size 0
		.amdhsa_kernarg_size 92
		.amdhsa_user_sgpr_count 2
		.amdhsa_user_sgpr_dispatch_ptr 0
		.amdhsa_user_sgpr_queue_ptr 0
		.amdhsa_user_sgpr_kernarg_segment_ptr 1
		.amdhsa_user_sgpr_dispatch_id 0
		.amdhsa_user_sgpr_kernarg_preload_length 0
		.amdhsa_user_sgpr_kernarg_preload_offset 0
		.amdhsa_user_sgpr_private_segment_size 0
		.amdhsa_wavefront_size32 1
		.amdhsa_uses_dynamic_stack 0
		.amdhsa_enable_private_segment 0
		.amdhsa_system_sgpr_workgroup_id_x 1
		.amdhsa_system_sgpr_workgroup_id_y 0
		.amdhsa_system_sgpr_workgroup_id_z 0
		.amdhsa_system_sgpr_workgroup_info 0
		.amdhsa_system_vgpr_workitem_id 0
		.amdhsa_next_free_vgpr 24
		.amdhsa_next_free_sgpr 36
		.amdhsa_named_barrier_count 0
		.amdhsa_reserve_vcc 1
		.amdhsa_float_round_mode_32 0
		.amdhsa_float_round_mode_16_64 0
		.amdhsa_float_denorm_mode_32 3
		.amdhsa_float_denorm_mode_16_64 3
		.amdhsa_fp16_overflow 0
		.amdhsa_memory_ordered 1
		.amdhsa_forward_progress 1
		.amdhsa_inst_pref_size 14
		.amdhsa_round_robin_scheduling 0
		.amdhsa_exception_fp_ieee_invalid_op 0
		.amdhsa_exception_fp_denorm_src 0
		.amdhsa_exception_fp_ieee_div_zero 0
		.amdhsa_exception_fp_ieee_overflow 0
		.amdhsa_exception_fp_ieee_underflow 0
		.amdhsa_exception_fp_ieee_inexact 0
		.amdhsa_exception_int_div_zero 0
	.end_amdhsa_kernel
	.section	.text._ZN9rocsparseL24bsrsm_upper_large_kernelILj256ELj16ELb0E21rocsparse_complex_numIdEEEviiPKiS4_PKT2_iPS5_iPiS4_S9_21rocsparse_index_base_20rocsparse_diag_type_20rocsparse_direction_,"axG",@progbits,_ZN9rocsparseL24bsrsm_upper_large_kernelILj256ELj16ELb0E21rocsparse_complex_numIdEEEviiPKiS4_PKT2_iPS5_iPiS4_S9_21rocsparse_index_base_20rocsparse_diag_type_20rocsparse_direction_,comdat
.Lfunc_end58:
	.size	_ZN9rocsparseL24bsrsm_upper_large_kernelILj256ELj16ELb0E21rocsparse_complex_numIdEEEviiPKiS4_PKT2_iPS5_iPiS4_S9_21rocsparse_index_base_20rocsparse_diag_type_20rocsparse_direction_, .Lfunc_end58-_ZN9rocsparseL24bsrsm_upper_large_kernelILj256ELj16ELb0E21rocsparse_complex_numIdEEEviiPKiS4_PKT2_iPS5_iPiS4_S9_21rocsparse_index_base_20rocsparse_diag_type_20rocsparse_direction_
                                        ; -- End function
	.set _ZN9rocsparseL24bsrsm_upper_large_kernelILj256ELj16ELb0E21rocsparse_complex_numIdEEEviiPKiS4_PKT2_iPS5_iPiS4_S9_21rocsparse_index_base_20rocsparse_diag_type_20rocsparse_direction_.num_vgpr, 24
	.set _ZN9rocsparseL24bsrsm_upper_large_kernelILj256ELj16ELb0E21rocsparse_complex_numIdEEEviiPKiS4_PKT2_iPS5_iPiS4_S9_21rocsparse_index_base_20rocsparse_diag_type_20rocsparse_direction_.num_agpr, 0
	.set _ZN9rocsparseL24bsrsm_upper_large_kernelILj256ELj16ELb0E21rocsparse_complex_numIdEEEviiPKiS4_PKT2_iPS5_iPiS4_S9_21rocsparse_index_base_20rocsparse_diag_type_20rocsparse_direction_.numbered_sgpr, 36
	.set _ZN9rocsparseL24bsrsm_upper_large_kernelILj256ELj16ELb0E21rocsparse_complex_numIdEEEviiPKiS4_PKT2_iPS5_iPiS4_S9_21rocsparse_index_base_20rocsparse_diag_type_20rocsparse_direction_.num_named_barrier, 0
	.set _ZN9rocsparseL24bsrsm_upper_large_kernelILj256ELj16ELb0E21rocsparse_complex_numIdEEEviiPKiS4_PKT2_iPS5_iPiS4_S9_21rocsparse_index_base_20rocsparse_diag_type_20rocsparse_direction_.private_seg_size, 0
	.set _ZN9rocsparseL24bsrsm_upper_large_kernelILj256ELj16ELb0E21rocsparse_complex_numIdEEEviiPKiS4_PKT2_iPS5_iPiS4_S9_21rocsparse_index_base_20rocsparse_diag_type_20rocsparse_direction_.uses_vcc, 1
	.set _ZN9rocsparseL24bsrsm_upper_large_kernelILj256ELj16ELb0E21rocsparse_complex_numIdEEEviiPKiS4_PKT2_iPS5_iPiS4_S9_21rocsparse_index_base_20rocsparse_diag_type_20rocsparse_direction_.uses_flat_scratch, 0
	.set _ZN9rocsparseL24bsrsm_upper_large_kernelILj256ELj16ELb0E21rocsparse_complex_numIdEEEviiPKiS4_PKT2_iPS5_iPiS4_S9_21rocsparse_index_base_20rocsparse_diag_type_20rocsparse_direction_.has_dyn_sized_stack, 0
	.set _ZN9rocsparseL24bsrsm_upper_large_kernelILj256ELj16ELb0E21rocsparse_complex_numIdEEEviiPKiS4_PKT2_iPS5_iPiS4_S9_21rocsparse_index_base_20rocsparse_diag_type_20rocsparse_direction_.has_recursion, 0
	.set _ZN9rocsparseL24bsrsm_upper_large_kernelILj256ELj16ELb0E21rocsparse_complex_numIdEEEviiPKiS4_PKT2_iPS5_iPiS4_S9_21rocsparse_index_base_20rocsparse_diag_type_20rocsparse_direction_.has_indirect_call, 0
	.section	.AMDGPU.csdata,"",@progbits
; Kernel info:
; codeLenInByte = 1756
; TotalNumSgprs: 38
; NumVgprs: 24
; ScratchSize: 0
; MemoryBound: 0
; FloatMode: 240
; IeeeMode: 1
; LDSByteSize: 0 bytes/workgroup (compile time only)
; SGPRBlocks: 0
; VGPRBlocks: 1
; NumSGPRsForWavesPerEU: 38
; NumVGPRsForWavesPerEU: 24
; NamedBarCnt: 0
; Occupancy: 16
; WaveLimiterHint : 1
; COMPUTE_PGM_RSRC2:SCRATCH_EN: 0
; COMPUTE_PGM_RSRC2:USER_SGPR: 2
; COMPUTE_PGM_RSRC2:TRAP_HANDLER: 0
; COMPUTE_PGM_RSRC2:TGID_X_EN: 1
; COMPUTE_PGM_RSRC2:TGID_Y_EN: 0
; COMPUTE_PGM_RSRC2:TGID_Z_EN: 0
; COMPUTE_PGM_RSRC2:TIDIG_COMP_CNT: 0
	.section	.text._ZN9rocsparseL24bsrsm_lower_large_kernelILj256ELj16ELb0E21rocsparse_complex_numIdEEEviiPKiS4_PKT2_iPS5_iPiS4_S9_21rocsparse_index_base_20rocsparse_diag_type_20rocsparse_direction_,"axG",@progbits,_ZN9rocsparseL24bsrsm_lower_large_kernelILj256ELj16ELb0E21rocsparse_complex_numIdEEEviiPKiS4_PKT2_iPS5_iPiS4_S9_21rocsparse_index_base_20rocsparse_diag_type_20rocsparse_direction_,comdat
	.globl	_ZN9rocsparseL24bsrsm_lower_large_kernelILj256ELj16ELb0E21rocsparse_complex_numIdEEEviiPKiS4_PKT2_iPS5_iPiS4_S9_21rocsparse_index_base_20rocsparse_diag_type_20rocsparse_direction_ ; -- Begin function _ZN9rocsparseL24bsrsm_lower_large_kernelILj256ELj16ELb0E21rocsparse_complex_numIdEEEviiPKiS4_PKT2_iPS5_iPiS4_S9_21rocsparse_index_base_20rocsparse_diag_type_20rocsparse_direction_
	.p2align	8
	.type	_ZN9rocsparseL24bsrsm_lower_large_kernelILj256ELj16ELb0E21rocsparse_complex_numIdEEEviiPKiS4_PKT2_iPS5_iPiS4_S9_21rocsparse_index_base_20rocsparse_diag_type_20rocsparse_direction_,@function
_ZN9rocsparseL24bsrsm_lower_large_kernelILj256ELj16ELb0E21rocsparse_complex_numIdEEEviiPKiS4_PKT2_iPS5_iPiS4_S9_21rocsparse_index_base_20rocsparse_diag_type_20rocsparse_direction_: ; @_ZN9rocsparseL24bsrsm_lower_large_kernelILj256ELj16ELb0E21rocsparse_complex_numIdEEEviiPKiS4_PKT2_iPS5_iPiS4_S9_21rocsparse_index_base_20rocsparse_diag_type_20rocsparse_direction_
; %bb.0:
	s_clause 0x1
	s_load_b64 s[24:25], s[0:1], 0x0
	s_load_b128 s[8:11], s[0:1], 0x8
	s_bfe_u32 s4, ttmp6, 0x4000c
	s_and_b32 s3, ttmp6, 15
	s_add_co_i32 s4, s4, 1
	s_getreg_b32 s5, hwreg(HW_REG_IB_STS2, 6, 4)
	s_mul_i32 s4, ttmp9, s4
	v_dual_lshrrev_b32 v6, 4, v0 :: v_dual_bitop2_b32 v7, 15, v0 bitop3:0x40
	s_add_co_i32 s3, s3, s4
	s_wait_kmcnt 0x0
	s_cvt_f32_u32 s2, s24
	s_sub_co_i32 s6, 0, s24
	s_delay_alu instid0(SALU_CYCLE_2) | instskip(SKIP_1) | instid1(TRANS32_DEP_1)
	v_rcp_iflag_f32_e32 v1, s2
	v_nop
	v_readfirstlane_b32 s2, v1
	s_mul_f32 s2, s2, 0x4f7ffffe
	s_delay_alu instid0(SALU_CYCLE_3) | instskip(NEXT) | instid1(SALU_CYCLE_3)
	s_cvt_u32_f32 s2, s2
	s_mul_i32 s6, s6, s2
	s_delay_alu instid0(SALU_CYCLE_1) | instskip(NEXT) | instid1(SALU_CYCLE_1)
	s_mul_hi_u32 s6, s2, s6
	s_add_co_i32 s2, s2, s6
	s_cmp_eq_u32 s5, 0
	s_load_b128 s[4:7], s[0:1], 0x38
	s_cselect_b32 s3, ttmp9, s3
	s_delay_alu instid0(SALU_CYCLE_1) | instskip(NEXT) | instid1(SALU_CYCLE_1)
	s_mul_hi_u32 s2, s3, s2
	s_mul_i32 s12, s2, s24
	s_add_co_i32 s13, s2, 1
	s_sub_co_i32 s12, s3, s12
	s_delay_alu instid0(SALU_CYCLE_1)
	s_sub_co_i32 s14, s12, s24
	s_cmp_ge_u32 s12, s24
	s_cselect_b32 s2, s13, s2
	s_cselect_b32 s12, s14, s12
	s_add_co_i32 s13, s2, 1
	s_cmp_ge_u32 s12, s24
	s_cselect_b32 s19, s13, s2
	s_delay_alu instid0(SALU_CYCLE_1) | instskip(SKIP_4) | instid1(SALU_CYCLE_1)
	s_mul_i32 s15, s19, s24
	s_lshl_b32 s19, s19, 4
	s_sub_co_i32 s2, s3, s15
	v_or_b32_e32 v1, s19, v6
	s_ashr_i32 s3, s2, 31
	s_lshl_b64 s[12:13], s[2:3], 2
	s_load_b64 s[2:3], s[0:1], 0x48
	s_wait_kmcnt 0x0
	s_add_nc_u64 s[6:7], s[6:7], s[12:13]
	v_cmp_gt_i32_e32 vcc_lo, s25, v1
	s_load_b32 s6, s[6:7], 0x0
	s_wait_kmcnt 0x0
	s_ashr_i32 s7, s6, 31
	s_delay_alu instid0(SALU_CYCLE_1) | instskip(NEXT) | instid1(SALU_CYCLE_1)
	s_lshl_b64 s[12:13], s[6:7], 2
	s_add_nc_u64 s[26:27], s[8:9], s[12:13]
	s_load_b96 s[12:14], s[0:1], 0x50
	s_load_b64 s[8:9], s[26:27], 0x0
	s_clause 0x1
	s_load_b96 s[16:18], s[0:1], 0x18
	s_load_b96 s[20:22], s[0:1], 0x28
	s_wait_xcnt 0x0
	v_cmp_eq_u32_e64 s0, 0, v0
	s_wait_kmcnt 0x0
	s_sub_co_i32 s23, s8, s12
	s_cmp_ge_i32 s8, s9
	s_mul_i32 s7, s6, s18
	s_mul_i32 s26, s18, s18
	s_cbranch_scc1 .LBB59_18
; %bb.1:
	v_mad_u32 v2, s18, s23, v7
	v_cmp_gt_i32_e64 s1, s18, v7
	s_sub_co_i32 s27, s9, s12
	v_mov_b32_e32 v9, 0
	s_cmp_lg_u32 s14, 0
	s_mul_i32 s30, s22, s18
	s_cselect_b32 s28, -1, 0
	s_and_b32 s1, vcc_lo, s1
	s_lshl_b32 s31, s18, 4
	v_mul_lo_u32 v8, s18, v2
	s_branch .LBB59_3
.LBB59_2:                               ;   in Loop: Header=BB59_3 Depth=1
                                        ; implicit-def: $vgpr8
	s_and_b32 vcc_lo, exec_lo, s8
	s_cbranch_vccnz .LBB59_19
.LBB59_3:                               ; =>This Loop Header: Depth=1
                                        ;     Child Loop BB59_7 Depth 2
                                        ;     Child Loop BB59_11 Depth 2
                                        ;       Child Loop BB59_13 Depth 3
	s_wait_xcnt 0x0
	v_mov_b32_e32 v2, s23
	global_load_b32 v2, v2, s[10:11] scale_offset
	s_wait_loadcnt 0x0
	v_readfirstlane_b32 s8, v2
	s_sub_co_i32 s29, s8, s12
	s_mov_b32 s8, -1
	s_cmp_ge_i32 s29, s6
	s_cbranch_scc1 .LBB59_2
; %bb.4:                                ;   in Loop: Header=BB59_3 Depth=1
	s_wait_xcnt 0x0
	s_and_saveexec_b32 s33, s0
	s_cbranch_execz .LBB59_8
; %bb.5:                                ;   in Loop: Header=BB59_3 Depth=1
	s_add_co_i32 s8, s29, s15
	s_delay_alu instid0(SALU_CYCLE_1)
	v_mov_b32_e32 v2, s8
	global_load_b32 v2, v2, s[4:5] scale_offset scope:SCOPE_DEV
	s_wait_loadcnt 0x0
	v_cmp_ne_u32_e32 vcc_lo, 0, v2
	s_cbranch_vccnz .LBB59_8
; %bb.6:                                ;   in Loop: Header=BB59_3 Depth=1
	s_ashr_i32 s9, s8, 31
	s_delay_alu instid0(SALU_CYCLE_1) | instskip(NEXT) | instid1(SALU_CYCLE_1)
	s_lshl_b64 s[8:9], s[8:9], 2
	s_add_nc_u64 s[8:9], s[4:5], s[8:9]
.LBB59_7:                               ;   Parent Loop BB59_3 Depth=1
                                        ; =>  This Inner Loop Header: Depth=2
	global_load_b32 v2, v9, s[8:9] scope:SCOPE_DEV
	s_wait_loadcnt 0x0
	v_cmp_eq_u32_e32 vcc_lo, 0, v2
	s_cbranch_vccnz .LBB59_7
.LBB59_8:                               ;   in Loop: Header=BB59_3 Depth=1
	s_wait_xcnt 0x0
	s_or_b32 exec_lo, exec_lo, s33
	global_wb scope:SCOPE_DEV
	s_wait_storecnt 0x0
	global_inv scope:SCOPE_DEV
	s_wait_loadcnt 0x0
	s_barrier_signal -1
	s_barrier_wait -1
	s_and_saveexec_b32 s8, s1
	s_cbranch_execz .LBB59_17
; %bb.9:                                ;   in Loop: Header=BB59_3 Depth=1
	v_mad_u32 v10, s30, s29, v1
	v_dual_mov_b32 v11, v8 :: v_dual_mov_b32 v12, v7
	s_mul_i32 s9, s23, s18
	s_mov_b32 s33, 0
	s_branch .LBB59_11
.LBB59_10:                              ;   in Loop: Header=BB59_11 Depth=2
	v_dual_add_nc_u32 v13, s7, v12 :: v_dual_add_nc_u32 v12, 16, v12
	v_add_nc_u32_e32 v11, s31, v11
	s_delay_alu instid0(VALU_DEP_2) | instskip(NEXT) | instid1(VALU_DEP_3)
	v_mad_u32 v13, v13, s22, v1
	v_cmp_le_i32_e32 vcc_lo, s18, v12
	s_or_b32 s33, vcc_lo, s33
	global_load_b128 v[14:17], v13, s[20:21] scale_offset
	s_wait_loadcnt 0x0
	v_add_f64_e64 v[14:15], v[14:15], -v[4:5]
	v_add_f64_e64 v[16:17], v[16:17], -v[2:3]
	global_store_b128 v13, v[14:17], s[20:21] scale_offset
	s_wait_xcnt 0x0
	s_and_not1_b32 exec_lo, exec_lo, s33
	s_cbranch_execz .LBB59_17
.LBB59_11:                              ;   Parent Loop BB59_3 Depth=1
                                        ; =>  This Loop Header: Depth=2
                                        ;       Child Loop BB59_13 Depth 3
	v_mov_b64_e32 v[2:3], 0
	v_mov_b64_e32 v[4:5], 0
	s_delay_alu instid0(VALU_DEP_4)
	v_mov_b32_e32 v13, v10
	s_mov_b32 s34, 0
	s_branch .LBB59_13
.LBB59_12:                              ;   in Loop: Header=BB59_13 Depth=3
	global_load_b128 v[16:19], v14, s[16:17] scale_offset
	global_load_b128 v[20:23], v13, s[20:21] scale_offset
	s_add_co_i32 s34, s34, 1
	s_wait_xcnt 0x0
	v_add_nc_u32_e32 v13, s22, v13
	s_cmp_eq_u32 s18, s34
	s_wait_loadcnt 0x0
	v_fmac_f64_e32 v[4:5], v[16:17], v[20:21]
	v_fmac_f64_e32 v[2:3], v[18:19], v[20:21]
	s_delay_alu instid0(VALU_DEP_2) | instskip(NEXT) | instid1(VALU_DEP_2)
	v_fma_f64 v[4:5], -v[18:19], v[22:23], v[4:5]
	v_fmac_f64_e32 v[2:3], v[16:17], v[22:23]
	s_cbranch_scc1 .LBB59_10
.LBB59_13:                              ;   Parent Loop BB59_3 Depth=1
                                        ;     Parent Loop BB59_11 Depth=2
                                        ; =>    This Inner Loop Header: Depth=3
	s_and_b32 vcc_lo, exec_lo, s28
	s_cbranch_vccz .LBB59_15
; %bb.14:                               ;   in Loop: Header=BB59_13 Depth=3
	s_add_co_i32 s35, s34, s9
	s_delay_alu instid0(SALU_CYCLE_1)
	v_mad_u32 v14, s35, s18, v12
	s_cbranch_execnz .LBB59_12
	s_branch .LBB59_16
.LBB59_15:                              ;   in Loop: Header=BB59_13 Depth=3
                                        ; implicit-def: $vgpr14
.LBB59_16:                              ;   in Loop: Header=BB59_13 Depth=3
	v_add_nc_u32_e32 v14, s34, v11
	s_branch .LBB59_12
.LBB59_17:                              ;   in Loop: Header=BB59_3 Depth=1
	s_or_b32 exec_lo, exec_lo, s8
	s_add_co_i32 s23, s23, 1
	v_add_nc_u32_e32 v8, s26, v8
	s_cmp_ge_i32 s23, s27
	s_cselect_b32 s8, -1, 0
	s_delay_alu instid0(SALU_CYCLE_1)
	s_and_b32 vcc_lo, exec_lo, s8
	s_cbranch_vccz .LBB59_3
	s_branch .LBB59_19
.LBB59_18:
	s_mov_b32 s29, s24
.LBB59_19:
	s_cmp_lt_i32 s6, s24
	v_cmp_gt_i32_e32 vcc_lo, s25, v1
	s_cselect_b32 s1, -1, 0
	s_cmp_eq_u32 s6, s29
	s_cselect_b32 s0, -1, 0
	s_delay_alu instid0(SALU_CYCLE_1) | instskip(SKIP_2) | instid1(SALU_CYCLE_1)
	s_and_b32 s0, vcc_lo, s0
	s_cmp_gt_i32 s18, 0
	s_cselect_b32 s8, -1, 0
	s_and_b32 s8, s0, s8
	s_mov_b32 s0, 0
	s_and_b32 s9, s8, s1
	s_wait_xcnt 0x0
	s_and_saveexec_b32 s8, s9
	s_cbranch_execz .LBB59_35
; %bb.20:
	v_dual_add_nc_u32 v2, s7, v7 :: v_dual_add_nc_u32 v12, 1, v7
	s_cmp_eq_u32 s13, 0
	s_mov_b32 s9, 0
	s_cselect_b32 s10, -1, 0
	s_delay_alu instid0(VALU_DEP_1)
	v_mad_u32 v2, s22, v2, s22
	s_cmp_lg_u32 s14, 0
	s_mul_i32 s11, s23, s18
	s_cselect_b32 s13, -1, 0
	s_lshl_b32 s14, s22, 4
	s_mov_b32 s24, 0
	s_delay_alu instid0(VALU_DEP_1)
	v_add3_u32 v13, v6, v2, s19
	s_mul_i32 s19, s23, s26
	s_add_co_i32 s23, s18, 1
	s_branch .LBB59_22
.LBB59_21:                              ;   in Loop: Header=BB59_22 Depth=1
	s_or_b32 exec_lo, exec_lo, s0
	v_add_nc_u32_e32 v13, s22, v13
	s_add_co_i32 s9, s9, 1
	s_add_co_i32 s19, s19, s23
	s_cmp_eq_u32 s9, s18
	s_cbranch_scc1 .LBB59_34
.LBB59_22:                              ; =>This Loop Header: Depth=1
                                        ;     Child Loop BB59_30 Depth 2
	s_and_not1_b32 vcc_lo, exec_lo, s10
	s_cbranch_vccz .LBB59_24
; %bb.23:                               ;   in Loop: Header=BB59_22 Depth=1
	v_mov_b64_e32 v[8:9], 0
	v_mov_b64_e32 v[6:7], 1.0
	s_branch .LBB59_25
.LBB59_24:                              ;   in Loop: Header=BB59_22 Depth=1
	s_add_co_i32 s0, s9, s11
	s_delay_alu instid0(SALU_CYCLE_1) | instskip(NEXT) | instid1(SALU_CYCLE_1)
	s_mul_i32 s0, s0, s18
	s_add_co_i32 s0, s0, s9
	s_wait_loadcnt 0x0
	v_mov_b32_e32 v2, s0
	global_load_b128 v[6:9], v2, s[16:17] scale_offset
.LBB59_25:                              ;   in Loop: Header=BB59_22 Depth=1
	s_add_co_i32 s0, s9, s7
	s_wait_loadcnt 0x0
	s_delay_alu instid0(VALU_DEP_1) | instskip(SKIP_4) | instid1(SALU_CYCLE_1)
	v_cmp_eq_f64_e32 vcc_lo, 0, v[6:7]
	v_mad_u32 v10, s0, s22, v1
	v_cmp_eq_f64_e64 s0, 0, v[8:9]
	global_load_b128 v[2:5], v10, s[20:21] scale_offset
	s_and_b32 s0, vcc_lo, s0
	s_and_b32 vcc_lo, exec_lo, s0
	s_cbranch_vccnz .LBB59_27
; %bb.26:                               ;   in Loop: Header=BB59_22 Depth=1
	v_dual_mul_f64 v[14:15], v[8:9], v[8:9] :: v_dual_ashrrev_i32 v11, 31, v10
	s_wait_xcnt 0x0
	s_delay_alu instid0(VALU_DEP_1) | instskip(NEXT) | instid1(VALU_DEP_2)
	v_lshl_add_u64 v[10:11], v[10:11], 4, s[20:21]
	v_fmac_f64_e32 v[14:15], v[6:7], v[6:7]
	s_delay_alu instid0(VALU_DEP_1) | instskip(SKIP_1) | instid1(VALU_DEP_2)
	v_div_scale_f64 v[16:17], null, v[14:15], v[14:15], 1.0
	v_div_scale_f64 v[22:23], vcc_lo, 1.0, v[14:15], 1.0
	v_rcp_f64_e32 v[18:19], v[16:17]
	v_nop
	s_delay_alu instid0(TRANS32_DEP_1) | instskip(NEXT) | instid1(VALU_DEP_1)
	v_fma_f64 v[20:21], -v[16:17], v[18:19], 1.0
	v_fmac_f64_e32 v[18:19], v[18:19], v[20:21]
	s_delay_alu instid0(VALU_DEP_1) | instskip(NEXT) | instid1(VALU_DEP_1)
	v_fma_f64 v[20:21], -v[16:17], v[18:19], 1.0
	v_fmac_f64_e32 v[18:19], v[18:19], v[20:21]
	s_delay_alu instid0(VALU_DEP_1) | instskip(NEXT) | instid1(VALU_DEP_1)
	v_mul_f64_e32 v[20:21], v[22:23], v[18:19]
	v_fma_f64 v[16:17], -v[16:17], v[20:21], v[22:23]
	s_wait_loadcnt 0x0
	v_mul_f64_e64 v[22:23], v[8:9], -v[2:3]
	s_delay_alu instid0(VALU_DEP_2) | instskip(SKIP_1) | instid1(VALU_DEP_3)
	v_div_fmas_f64 v[16:17], v[16:17], v[18:19], v[20:21]
	v_mul_f64_e32 v[18:19], v[8:9], v[4:5]
	v_fmac_f64_e32 v[22:23], v[4:5], v[6:7]
	s_delay_alu instid0(VALU_DEP_3) | instskip(NEXT) | instid1(VALU_DEP_3)
	v_div_fixup_f64 v[4:5], v[16:17], v[14:15], 1.0
	v_fmac_f64_e32 v[18:19], v[2:3], v[6:7]
	s_delay_alu instid0(VALU_DEP_2) | instskip(NEXT) | instid1(VALU_DEP_2)
	v_mul_f64_e32 v[8:9], v[4:5], v[22:23]
	v_mul_f64_e32 v[6:7], v[4:5], v[18:19]
	s_delay_alu instid0(VALU_DEP_2) | instskip(NEXT) | instid1(VALU_DEP_2)
	v_mov_b64_e32 v[4:5], v[8:9]
	v_mov_b64_e32 v[2:3], v[6:7]
	global_store_b128 v[10:11], v[6:9], off
	s_wait_xcnt 0x0
	v_add_nc_u32_e32 v6, s9, v12
	s_mov_b32 s0, exec_lo
	s_delay_alu instid0(VALU_DEP_1)
	v_cmpx_gt_i32_e64 s18, v6
	s_cbranch_execz .LBB59_21
	s_branch .LBB59_28
.LBB59_27:                              ;   in Loop: Header=BB59_22 Depth=1
	s_mov_b32 s24, -1
	v_add_nc_u32_e32 v6, s9, v12
	s_mov_b32 s0, exec_lo
	s_wait_xcnt 0x0
	s_delay_alu instid0(VALU_DEP_1)
	v_cmpx_gt_i32_e64 s18, v6
	s_cbranch_execz .LBB59_21
.LBB59_28:                              ;   in Loop: Header=BB59_22 Depth=1
	v_dual_mov_b32 v7, v13 :: v_dual_mov_b32 v8, v12
	s_mov_b32 s25, 0
	s_branch .LBB59_30
.LBB59_29:                              ;   in Loop: Header=BB59_30 Depth=2
	global_load_b128 v[14:17], v9, s[16:17] scale_offset
	global_load_b128 v[18:21], v7, s[20:21] scale_offset
	v_dual_add_nc_u32 v6, 16, v6 :: v_dual_add_nc_u32 v8, 16, v8
	s_wait_xcnt 0x1
	s_delay_alu instid0(VALU_DEP_1) | instskip(NEXT) | instid1(VALU_DEP_1)
	v_add_nc_u32_e32 v9, s9, v8
	v_cmp_le_i32_e32 vcc_lo, s18, v9
	s_or_b32 s25, vcc_lo, s25
	s_wait_loadcnt 0x1
	v_mul_f64_e64 v[10:11], v[16:17], -v[4:5]
	v_mul_f64_e32 v[16:17], v[2:3], v[16:17]
	s_delay_alu instid0(VALU_DEP_2) | instskip(NEXT) | instid1(VALU_DEP_2)
	v_fmac_f64_e32 v[10:11], v[2:3], v[14:15]
	v_fmac_f64_e32 v[16:17], v[4:5], v[14:15]
	s_wait_loadcnt 0x0
	s_delay_alu instid0(VALU_DEP_2) | instskip(NEXT) | instid1(VALU_DEP_2)
	v_add_f64_e64 v[14:15], v[18:19], -v[10:11]
	v_add_f64_e64 v[16:17], v[20:21], -v[16:17]
	global_store_b128 v7, v[14:17], s[20:21] scale_offset
	s_wait_xcnt 0x0
	v_add_nc_u32_e32 v7, s14, v7
	s_and_not1_b32 exec_lo, exec_lo, s25
	s_cbranch_execz .LBB59_21
.LBB59_30:                              ;   Parent Loop BB59_22 Depth=1
                                        ; =>  This Inner Loop Header: Depth=2
	s_and_b32 vcc_lo, exec_lo, s13
	s_cbranch_vccz .LBB59_32
; %bb.31:                               ;   in Loop: Header=BB59_30 Depth=2
	v_add_nc_u32_e32 v9, s19, v8
	s_cbranch_execnz .LBB59_29
	s_branch .LBB59_33
.LBB59_32:                              ;   in Loop: Header=BB59_30 Depth=2
                                        ; implicit-def: $vgpr9
.LBB59_33:                              ;   in Loop: Header=BB59_30 Depth=2
	v_add_nc_u32_e32 v9, s11, v6
	s_delay_alu instid0(VALU_DEP_1)
	v_mad_u32 v9, v9, s18, s9
	s_branch .LBB59_29
.LBB59_34:
	s_and_b32 s0, s24, exec_lo
.LBB59_35:
	s_or_b32 exec_lo, exec_lo, s8
	v_cmp_eq_u32_e32 vcc_lo, 0, v0
	global_wb scope:SCOPE_DEV
	s_wait_loadcnt 0x0
	s_wait_storecnt 0x0
	global_inv scope:SCOPE_DEV
	s_wait_loadcnt 0x0
	s_barrier_signal -1
	s_barrier_wait -1
	s_and_b32 s1, vcc_lo, s1
	s_delay_alu instid0(SALU_CYCLE_1)
	s_and_saveexec_b32 s7, s1
	s_cbranch_execz .LBB59_39
; %bb.36:
	s_add_co_i32 s1, s6, s15
	s_delay_alu instid0(SALU_CYCLE_1)
	v_dual_mov_b32 v0, 1 :: v_dual_mov_b32 v1, s1
	global_store_b32 v1, v0, s[4:5] scale_offset scope:SCOPE_DEV
	s_wait_xcnt 0x0
	s_and_b32 exec_lo, exec_lo, s0
	s_cbranch_execz .LBB59_39
; %bb.37:
	v_mbcnt_lo_u32_b32 v0, exec_lo, 0
	s_delay_alu instid0(VALU_DEP_1)
	v_cmp_eq_u32_e32 vcc_lo, 0, v0
	s_and_b32 exec_lo, exec_lo, vcc_lo
	s_cbranch_execz .LBB59_39
; %bb.38:
	s_add_co_i32 s0, s6, s12
	s_delay_alu instid0(SALU_CYCLE_1)
	v_dual_mov_b32 v0, 0 :: v_dual_mov_b32 v1, s0
	global_atomic_min_i32 v0, v1, s[2:3] scope:SCOPE_DEV
.LBB59_39:
	s_endpgm
	.section	.rodata,"a",@progbits
	.p2align	6, 0x0
	.amdhsa_kernel _ZN9rocsparseL24bsrsm_lower_large_kernelILj256ELj16ELb0E21rocsparse_complex_numIdEEEviiPKiS4_PKT2_iPS5_iPiS4_S9_21rocsparse_index_base_20rocsparse_diag_type_20rocsparse_direction_
		.amdhsa_group_segment_fixed_size 0
		.amdhsa_private_segment_fixed_size 0
		.amdhsa_kernarg_size 92
		.amdhsa_user_sgpr_count 2
		.amdhsa_user_sgpr_dispatch_ptr 0
		.amdhsa_user_sgpr_queue_ptr 0
		.amdhsa_user_sgpr_kernarg_segment_ptr 1
		.amdhsa_user_sgpr_dispatch_id 0
		.amdhsa_user_sgpr_kernarg_preload_length 0
		.amdhsa_user_sgpr_kernarg_preload_offset 0
		.amdhsa_user_sgpr_private_segment_size 0
		.amdhsa_wavefront_size32 1
		.amdhsa_uses_dynamic_stack 0
		.amdhsa_enable_private_segment 0
		.amdhsa_system_sgpr_workgroup_id_x 1
		.amdhsa_system_sgpr_workgroup_id_y 0
		.amdhsa_system_sgpr_workgroup_id_z 0
		.amdhsa_system_sgpr_workgroup_info 0
		.amdhsa_system_vgpr_workitem_id 0
		.amdhsa_next_free_vgpr 24
		.amdhsa_next_free_sgpr 36
		.amdhsa_named_barrier_count 0
		.amdhsa_reserve_vcc 1
		.amdhsa_float_round_mode_32 0
		.amdhsa_float_round_mode_16_64 0
		.amdhsa_float_denorm_mode_32 3
		.amdhsa_float_denorm_mode_16_64 3
		.amdhsa_fp16_overflow 0
		.amdhsa_memory_ordered 1
		.amdhsa_forward_progress 1
		.amdhsa_inst_pref_size 14
		.amdhsa_round_robin_scheduling 0
		.amdhsa_exception_fp_ieee_invalid_op 0
		.amdhsa_exception_fp_denorm_src 0
		.amdhsa_exception_fp_ieee_div_zero 0
		.amdhsa_exception_fp_ieee_overflow 0
		.amdhsa_exception_fp_ieee_underflow 0
		.amdhsa_exception_fp_ieee_inexact 0
		.amdhsa_exception_int_div_zero 0
	.end_amdhsa_kernel
	.section	.text._ZN9rocsparseL24bsrsm_lower_large_kernelILj256ELj16ELb0E21rocsparse_complex_numIdEEEviiPKiS4_PKT2_iPS5_iPiS4_S9_21rocsparse_index_base_20rocsparse_diag_type_20rocsparse_direction_,"axG",@progbits,_ZN9rocsparseL24bsrsm_lower_large_kernelILj256ELj16ELb0E21rocsparse_complex_numIdEEEviiPKiS4_PKT2_iPS5_iPiS4_S9_21rocsparse_index_base_20rocsparse_diag_type_20rocsparse_direction_,comdat
.Lfunc_end59:
	.size	_ZN9rocsparseL24bsrsm_lower_large_kernelILj256ELj16ELb0E21rocsparse_complex_numIdEEEviiPKiS4_PKT2_iPS5_iPiS4_S9_21rocsparse_index_base_20rocsparse_diag_type_20rocsparse_direction_, .Lfunc_end59-_ZN9rocsparseL24bsrsm_lower_large_kernelILj256ELj16ELb0E21rocsparse_complex_numIdEEEviiPKiS4_PKT2_iPS5_iPiS4_S9_21rocsparse_index_base_20rocsparse_diag_type_20rocsparse_direction_
                                        ; -- End function
	.set _ZN9rocsparseL24bsrsm_lower_large_kernelILj256ELj16ELb0E21rocsparse_complex_numIdEEEviiPKiS4_PKT2_iPS5_iPiS4_S9_21rocsparse_index_base_20rocsparse_diag_type_20rocsparse_direction_.num_vgpr, 24
	.set _ZN9rocsparseL24bsrsm_lower_large_kernelILj256ELj16ELb0E21rocsparse_complex_numIdEEEviiPKiS4_PKT2_iPS5_iPiS4_S9_21rocsparse_index_base_20rocsparse_diag_type_20rocsparse_direction_.num_agpr, 0
	.set _ZN9rocsparseL24bsrsm_lower_large_kernelILj256ELj16ELb0E21rocsparse_complex_numIdEEEviiPKiS4_PKT2_iPS5_iPiS4_S9_21rocsparse_index_base_20rocsparse_diag_type_20rocsparse_direction_.numbered_sgpr, 36
	.set _ZN9rocsparseL24bsrsm_lower_large_kernelILj256ELj16ELb0E21rocsparse_complex_numIdEEEviiPKiS4_PKT2_iPS5_iPiS4_S9_21rocsparse_index_base_20rocsparse_diag_type_20rocsparse_direction_.num_named_barrier, 0
	.set _ZN9rocsparseL24bsrsm_lower_large_kernelILj256ELj16ELb0E21rocsparse_complex_numIdEEEviiPKiS4_PKT2_iPS5_iPiS4_S9_21rocsparse_index_base_20rocsparse_diag_type_20rocsparse_direction_.private_seg_size, 0
	.set _ZN9rocsparseL24bsrsm_lower_large_kernelILj256ELj16ELb0E21rocsparse_complex_numIdEEEviiPKiS4_PKT2_iPS5_iPiS4_S9_21rocsparse_index_base_20rocsparse_diag_type_20rocsparse_direction_.uses_vcc, 1
	.set _ZN9rocsparseL24bsrsm_lower_large_kernelILj256ELj16ELb0E21rocsparse_complex_numIdEEEviiPKiS4_PKT2_iPS5_iPiS4_S9_21rocsparse_index_base_20rocsparse_diag_type_20rocsparse_direction_.uses_flat_scratch, 0
	.set _ZN9rocsparseL24bsrsm_lower_large_kernelILj256ELj16ELb0E21rocsparse_complex_numIdEEEviiPKiS4_PKT2_iPS5_iPiS4_S9_21rocsparse_index_base_20rocsparse_diag_type_20rocsparse_direction_.has_dyn_sized_stack, 0
	.set _ZN9rocsparseL24bsrsm_lower_large_kernelILj256ELj16ELb0E21rocsparse_complex_numIdEEEviiPKiS4_PKT2_iPS5_iPiS4_S9_21rocsparse_index_base_20rocsparse_diag_type_20rocsparse_direction_.has_recursion, 0
	.set _ZN9rocsparseL24bsrsm_lower_large_kernelILj256ELj16ELb0E21rocsparse_complex_numIdEEEviiPKiS4_PKT2_iPS5_iPiS4_S9_21rocsparse_index_base_20rocsparse_diag_type_20rocsparse_direction_.has_indirect_call, 0
	.section	.AMDGPU.csdata,"",@progbits
; Kernel info:
; codeLenInByte = 1776
; TotalNumSgprs: 38
; NumVgprs: 24
; ScratchSize: 0
; MemoryBound: 0
; FloatMode: 240
; IeeeMode: 1
; LDSByteSize: 0 bytes/workgroup (compile time only)
; SGPRBlocks: 0
; VGPRBlocks: 1
; NumSGPRsForWavesPerEU: 38
; NumVGPRsForWavesPerEU: 24
; NamedBarCnt: 0
; Occupancy: 16
; WaveLimiterHint : 1
; COMPUTE_PGM_RSRC2:SCRATCH_EN: 0
; COMPUTE_PGM_RSRC2:USER_SGPR: 2
; COMPUTE_PGM_RSRC2:TRAP_HANDLER: 0
; COMPUTE_PGM_RSRC2:TGID_X_EN: 1
; COMPUTE_PGM_RSRC2:TGID_Y_EN: 0
; COMPUTE_PGM_RSRC2:TGID_Z_EN: 0
; COMPUTE_PGM_RSRC2:TIDIG_COMP_CNT: 0
	.section	.text._ZN9rocsparseL24bsrsm_upper_large_kernelILj512ELj16ELb0E21rocsparse_complex_numIdEEEviiPKiS4_PKT2_iPS5_iPiS4_S9_21rocsparse_index_base_20rocsparse_diag_type_20rocsparse_direction_,"axG",@progbits,_ZN9rocsparseL24bsrsm_upper_large_kernelILj512ELj16ELb0E21rocsparse_complex_numIdEEEviiPKiS4_PKT2_iPS5_iPiS4_S9_21rocsparse_index_base_20rocsparse_diag_type_20rocsparse_direction_,comdat
	.globl	_ZN9rocsparseL24bsrsm_upper_large_kernelILj512ELj16ELb0E21rocsparse_complex_numIdEEEviiPKiS4_PKT2_iPS5_iPiS4_S9_21rocsparse_index_base_20rocsparse_diag_type_20rocsparse_direction_ ; -- Begin function _ZN9rocsparseL24bsrsm_upper_large_kernelILj512ELj16ELb0E21rocsparse_complex_numIdEEEviiPKiS4_PKT2_iPS5_iPiS4_S9_21rocsparse_index_base_20rocsparse_diag_type_20rocsparse_direction_
	.p2align	8
	.type	_ZN9rocsparseL24bsrsm_upper_large_kernelILj512ELj16ELb0E21rocsparse_complex_numIdEEEviiPKiS4_PKT2_iPS5_iPiS4_S9_21rocsparse_index_base_20rocsparse_diag_type_20rocsparse_direction_,@function
_ZN9rocsparseL24bsrsm_upper_large_kernelILj512ELj16ELb0E21rocsparse_complex_numIdEEEviiPKiS4_PKT2_iPS5_iPiS4_S9_21rocsparse_index_base_20rocsparse_diag_type_20rocsparse_direction_: ; @_ZN9rocsparseL24bsrsm_upper_large_kernelILj512ELj16ELb0E21rocsparse_complex_numIdEEEviiPKiS4_PKT2_iPS5_iPiS4_S9_21rocsparse_index_base_20rocsparse_diag_type_20rocsparse_direction_
; %bb.0:
	s_clause 0x1
	s_load_b64 s[24:25], s[0:1], 0x0
	s_load_b128 s[8:11], s[0:1], 0x8
	s_bfe_u32 s4, ttmp6, 0x4000c
	s_and_b32 s3, ttmp6, 15
	s_add_co_i32 s4, s4, 1
	s_getreg_b32 s5, hwreg(HW_REG_IB_STS2, 6, 4)
	s_mul_i32 s4, ttmp9, s4
	v_dual_lshrrev_b32 v6, 5, v0 :: v_dual_bitop2_b32 v12, 31, v0 bitop3:0x40
	s_add_co_i32 s3, s3, s4
	s_wait_kmcnt 0x0
	s_cvt_f32_u32 s2, s24
	s_sub_co_i32 s6, 0, s24
	s_delay_alu instid0(SALU_CYCLE_2) | instskip(SKIP_1) | instid1(TRANS32_DEP_1)
	v_rcp_iflag_f32_e32 v1, s2
	v_nop
	v_readfirstlane_b32 s2, v1
	s_mul_f32 s2, s2, 0x4f7ffffe
	s_delay_alu instid0(SALU_CYCLE_3) | instskip(NEXT) | instid1(SALU_CYCLE_3)
	s_cvt_u32_f32 s2, s2
	s_mul_i32 s6, s6, s2
	s_delay_alu instid0(SALU_CYCLE_1) | instskip(NEXT) | instid1(SALU_CYCLE_1)
	s_mul_hi_u32 s6, s2, s6
	s_add_co_i32 s2, s2, s6
	s_cmp_eq_u32 s5, 0
	s_load_b128 s[4:7], s[0:1], 0x38
	s_cselect_b32 s3, ttmp9, s3
	s_delay_alu instid0(SALU_CYCLE_1) | instskip(NEXT) | instid1(SALU_CYCLE_1)
	s_mul_hi_u32 s2, s3, s2
	s_mul_i32 s12, s2, s24
	s_add_co_i32 s13, s2, 1
	s_sub_co_i32 s12, s3, s12
	s_delay_alu instid0(SALU_CYCLE_1)
	s_sub_co_i32 s14, s12, s24
	s_cmp_ge_u32 s12, s24
	s_cselect_b32 s2, s13, s2
	s_cselect_b32 s12, s14, s12
	s_add_co_i32 s13, s2, 1
	s_cmp_ge_u32 s12, s24
	s_cselect_b32 s19, s13, s2
	s_delay_alu instid0(SALU_CYCLE_1) | instskip(SKIP_4) | instid1(SALU_CYCLE_1)
	s_mul_i32 s15, s19, s24
	s_lshl_b32 s19, s19, 4
	s_sub_co_i32 s2, s3, s15
	v_or_b32_e32 v1, s19, v6
	s_ashr_i32 s3, s2, 31
	s_lshl_b64 s[12:13], s[2:3], 2
	s_load_b64 s[2:3], s[0:1], 0x48
	s_wait_kmcnt 0x0
	s_add_nc_u64 s[6:7], s[6:7], s[12:13]
	s_load_b96 s[12:14], s[0:1], 0x50
	v_cmp_gt_i32_e32 vcc_lo, s25, v1
	s_load_b32 s6, s[6:7], 0x0
	s_wait_kmcnt 0x0
	s_ashr_i32 s7, s6, 31
	s_delay_alu instid0(SALU_CYCLE_1) | instskip(NEXT) | instid1(SALU_CYCLE_1)
	s_lshl_b64 s[16:17], s[6:7], 2
	s_add_nc_u64 s[8:9], s[8:9], s[16:17]
	s_load_b64 s[26:27], s[8:9], 0x0
	s_clause 0x1
	s_load_b96 s[16:18], s[0:1], 0x18
	s_load_b96 s[20:22], s[0:1], 0x28
	s_wait_xcnt 0x0
	s_not_b32 s0, s12
	s_wait_kmcnt 0x0
	s_add_co_i32 s23, s27, s0
	v_cmp_eq_u32_e64 s0, 0, v0
	s_sub_co_i32 s26, s26, s12
	s_mul_i32 s7, s6, s18
	s_cmp_lt_i32 s23, s26
	s_cbranch_scc1 .LBB60_18
; %bb.1:
	v_mad_u32 v2, s18, s23, v12
	v_cmp_gt_i32_e64 s1, s18, v12
	v_mov_b32_e32 v8, 0
	s_cmp_lg_u32 s14, 0
	s_mul_i32 s29, s22, s18
	s_cselect_b32 s27, -1, 0
	s_and_b32 s1, vcc_lo, s1
	s_mul_i32 s30, s18, s18
	s_lshl_b32 s31, s18, 5
	v_mul_lo_u32 v7, s18, v2
	s_branch .LBB60_3
.LBB60_2:                               ;   in Loop: Header=BB60_3 Depth=1
                                        ; implicit-def: $vgpr7
	s_cbranch_execnz .LBB60_19
.LBB60_3:                               ; =>This Loop Header: Depth=1
                                        ;     Child Loop BB60_7 Depth 2
                                        ;     Child Loop BB60_11 Depth 2
                                        ;       Child Loop BB60_13 Depth 3
	s_wait_xcnt 0x0
	v_mov_b32_e32 v2, s23
	global_load_b32 v2, v2, s[10:11] scale_offset
	s_wait_loadcnt 0x0
	v_readfirstlane_b32 s8, v2
	s_sub_co_i32 s28, s8, s12
	s_delay_alu instid0(SALU_CYCLE_1)
	s_cmp_le_i32 s28, s6
	s_cbranch_scc1 .LBB60_2
; %bb.4:                                ;   in Loop: Header=BB60_3 Depth=1
	s_wait_xcnt 0x0
	s_and_saveexec_b32 s33, s0
	s_cbranch_execz .LBB60_8
; %bb.5:                                ;   in Loop: Header=BB60_3 Depth=1
	s_add_co_i32 s8, s28, s15
	s_delay_alu instid0(SALU_CYCLE_1)
	v_mov_b32_e32 v2, s8
	global_load_b32 v2, v2, s[4:5] scale_offset scope:SCOPE_DEV
	s_wait_loadcnt 0x0
	v_cmp_ne_u32_e32 vcc_lo, 0, v2
	s_cbranch_vccnz .LBB60_8
; %bb.6:                                ;   in Loop: Header=BB60_3 Depth=1
	s_ashr_i32 s9, s8, 31
	s_delay_alu instid0(SALU_CYCLE_1) | instskip(NEXT) | instid1(SALU_CYCLE_1)
	s_lshl_b64 s[8:9], s[8:9], 2
	s_add_nc_u64 s[8:9], s[4:5], s[8:9]
.LBB60_7:                               ;   Parent Loop BB60_3 Depth=1
                                        ; =>  This Inner Loop Header: Depth=2
	global_load_b32 v2, v8, s[8:9] scope:SCOPE_DEV
	s_wait_loadcnt 0x0
	v_cmp_eq_u32_e32 vcc_lo, 0, v2
	s_cbranch_vccnz .LBB60_7
.LBB60_8:                               ;   in Loop: Header=BB60_3 Depth=1
	s_wait_xcnt 0x0
	s_or_b32 exec_lo, exec_lo, s33
	global_wb scope:SCOPE_DEV
	s_wait_storecnt 0x0
	global_inv scope:SCOPE_DEV
	s_wait_loadcnt 0x0
	s_barrier_signal -1
	s_barrier_wait -1
	s_and_saveexec_b32 s8, s1
	s_cbranch_execz .LBB60_17
; %bb.9:                                ;   in Loop: Header=BB60_3 Depth=1
	v_mad_u32 v9, s29, s28, v1
	v_dual_mov_b32 v10, v7 :: v_dual_mov_b32 v11, v12
	s_mul_i32 s9, s23, s18
	s_mov_b32 s33, 0
	s_branch .LBB60_11
.LBB60_10:                              ;   in Loop: Header=BB60_11 Depth=2
	v_dual_add_nc_u32 v13, s7, v11 :: v_dual_add_nc_u32 v11, 32, v11
	v_add_nc_u32_e32 v10, s31, v10
	s_delay_alu instid0(VALU_DEP_2) | instskip(NEXT) | instid1(VALU_DEP_3)
	v_mad_u32 v13, v13, s22, v1
	v_cmp_le_i32_e32 vcc_lo, s18, v11
	s_or_b32 s33, vcc_lo, s33
	global_load_b128 v[14:17], v13, s[20:21] scale_offset
	s_wait_loadcnt 0x0
	v_add_f64_e64 v[14:15], v[14:15], -v[4:5]
	v_add_f64_e64 v[16:17], v[16:17], -v[2:3]
	global_store_b128 v13, v[14:17], s[20:21] scale_offset
	s_wait_xcnt 0x0
	s_and_not1_b32 exec_lo, exec_lo, s33
	s_cbranch_execz .LBB60_17
.LBB60_11:                              ;   Parent Loop BB60_3 Depth=1
                                        ; =>  This Loop Header: Depth=2
                                        ;       Child Loop BB60_13 Depth 3
	v_mov_b64_e32 v[2:3], 0
	v_mov_b64_e32 v[4:5], 0
	s_delay_alu instid0(VALU_DEP_4)
	v_mov_b32_e32 v13, v9
	s_mov_b32 s34, 0
	s_branch .LBB60_13
.LBB60_12:                              ;   in Loop: Header=BB60_13 Depth=3
	global_load_b128 v[16:19], v14, s[16:17] scale_offset
	global_load_b128 v[20:23], v13, s[20:21] scale_offset
	s_add_co_i32 s34, s34, 1
	s_wait_xcnt 0x0
	v_add_nc_u32_e32 v13, s22, v13
	s_cmp_eq_u32 s18, s34
	s_wait_loadcnt 0x0
	v_fmac_f64_e32 v[4:5], v[16:17], v[20:21]
	v_fmac_f64_e32 v[2:3], v[18:19], v[20:21]
	s_delay_alu instid0(VALU_DEP_2) | instskip(NEXT) | instid1(VALU_DEP_2)
	v_fma_f64 v[4:5], -v[18:19], v[22:23], v[4:5]
	v_fmac_f64_e32 v[2:3], v[16:17], v[22:23]
	s_cbranch_scc1 .LBB60_10
.LBB60_13:                              ;   Parent Loop BB60_3 Depth=1
                                        ;     Parent Loop BB60_11 Depth=2
                                        ; =>    This Inner Loop Header: Depth=3
	s_and_b32 vcc_lo, exec_lo, s27
	s_cbranch_vccz .LBB60_15
; %bb.14:                               ;   in Loop: Header=BB60_13 Depth=3
	s_add_co_i32 s35, s34, s9
	s_delay_alu instid0(SALU_CYCLE_1)
	v_mad_u32 v14, s35, s18, v11
	s_cbranch_execnz .LBB60_12
	s_branch .LBB60_16
.LBB60_15:                              ;   in Loop: Header=BB60_13 Depth=3
                                        ; implicit-def: $vgpr14
.LBB60_16:                              ;   in Loop: Header=BB60_13 Depth=3
	v_add_nc_u32_e32 v14, s34, v10
	s_branch .LBB60_12
.LBB60_17:                              ;   in Loop: Header=BB60_3 Depth=1
	s_or_b32 exec_lo, exec_lo, s8
	s_add_co_i32 s9, s23, -1
	s_cmp_le_i32 s23, s26
	v_subrev_nc_u32_e32 v7, s30, v7
	s_cselect_b32 s8, -1, 0
	s_mov_b32 s23, s9
	s_and_b32 vcc_lo, exec_lo, s8
	s_cbranch_vccz .LBB60_3
	s_branch .LBB60_19
.LBB60_18:
	s_mov_b32 s28, s24
.LBB60_19:
	s_cmp_lt_i32 s6, s24
	v_cmp_gt_i32_e32 vcc_lo, s25, v1
	s_cselect_b32 s1, -1, 0
	s_cmp_eq_u32 s6, s28
	s_cselect_b32 s0, -1, 0
	s_delay_alu instid0(SALU_CYCLE_1) | instskip(SKIP_2) | instid1(SALU_CYCLE_1)
	s_and_b32 s0, vcc_lo, s0
	s_cmp_gt_i32 s18, 0
	s_cselect_b32 s8, -1, 0
	s_and_b32 s8, s0, s8
	s_mov_b32 s0, 0
	s_and_b32 s9, s8, s1
	s_wait_xcnt 0x0
	s_and_saveexec_b32 s8, s9
	s_cbranch_execz .LBB60_36
; %bb.20:
	v_add_nc_u32_e32 v2, s7, v12
	s_cmp_eq_u32 s13, 0
	s_mov_b32 s13, 0
	s_cselect_b32 s9, -1, 0
	s_cmp_lg_u32 s14, 0
	v_mul_lo_u32 v2, s22, v2
	s_cselect_b32 s10, -1, 0
	s_add_co_i32 s0, s23, 1
	s_mul_i32 s11, s23, s18
	s_mul_i32 s0, s18, s0
	s_lshl_b32 s14, s22, 5
	s_add_co_i32 s0, s0, -1
	s_mov_b32 s23, s18
	s_delay_alu instid0(VALU_DEP_1)
	v_add3_u32 v13, v6, v2, s19
	s_mul_i32 s19, s18, s0
	s_and_not1_b32 vcc_lo, exec_lo, s9
	s_add_co_i32 s24, s23, -1
	s_cbranch_vccz .LBB60_22
.LBB60_21:
	v_mov_b64_e32 v[8:9], 0
	v_mov_b64_e32 v[6:7], 1.0
	s_branch .LBB60_23
.LBB60_22:
	s_add_co_i32 s0, s24, s11
	s_delay_alu instid0(SALU_CYCLE_1) | instskip(NEXT) | instid1(SALU_CYCLE_1)
	s_mul_i32 s0, s0, s18
	s_add_co_i32 s0, s0, s24
	s_wait_loadcnt 0x0
	v_mov_b32_e32 v2, s0
	global_load_b128 v[6:9], v2, s[16:17] scale_offset
.LBB60_23:
	s_add_co_i32 s0, s24, s7
	s_wait_loadcnt 0x0
	s_delay_alu instid0(VALU_DEP_1) | instskip(SKIP_4) | instid1(SALU_CYCLE_1)
	v_cmp_eq_f64_e32 vcc_lo, 0, v[6:7]
	v_mad_u32 v10, s0, s22, v1
	v_cmp_eq_f64_e64 s0, 0, v[8:9]
	global_load_b128 v[2:5], v10, s[20:21] scale_offset
	s_and_b32 s0, vcc_lo, s0
	s_and_b32 vcc_lo, exec_lo, s0
	s_cbranch_vccnz .LBB60_25
; %bb.24:
	v_dual_mul_f64 v[14:15], v[8:9], v[8:9] :: v_dual_ashrrev_i32 v11, 31, v10
	s_wait_xcnt 0x0
	s_delay_alu instid0(VALU_DEP_1) | instskip(NEXT) | instid1(VALU_DEP_2)
	v_lshl_add_u64 v[10:11], v[10:11], 4, s[20:21]
	v_fmac_f64_e32 v[14:15], v[6:7], v[6:7]
	s_delay_alu instid0(VALU_DEP_1) | instskip(SKIP_1) | instid1(VALU_DEP_2)
	v_div_scale_f64 v[16:17], null, v[14:15], v[14:15], 1.0
	v_div_scale_f64 v[22:23], vcc_lo, 1.0, v[14:15], 1.0
	v_rcp_f64_e32 v[18:19], v[16:17]
	v_nop
	s_delay_alu instid0(TRANS32_DEP_1) | instskip(NEXT) | instid1(VALU_DEP_1)
	v_fma_f64 v[20:21], -v[16:17], v[18:19], 1.0
	v_fmac_f64_e32 v[18:19], v[18:19], v[20:21]
	s_delay_alu instid0(VALU_DEP_1) | instskip(NEXT) | instid1(VALU_DEP_1)
	v_fma_f64 v[20:21], -v[16:17], v[18:19], 1.0
	v_fmac_f64_e32 v[18:19], v[18:19], v[20:21]
	s_delay_alu instid0(VALU_DEP_1) | instskip(NEXT) | instid1(VALU_DEP_1)
	v_mul_f64_e32 v[20:21], v[22:23], v[18:19]
	v_fma_f64 v[16:17], -v[16:17], v[20:21], v[22:23]
	s_wait_loadcnt 0x0
	v_mul_f64_e64 v[22:23], v[8:9], -v[2:3]
	s_delay_alu instid0(VALU_DEP_2) | instskip(SKIP_1) | instid1(VALU_DEP_3)
	v_div_fmas_f64 v[16:17], v[16:17], v[18:19], v[20:21]
	v_mul_f64_e32 v[18:19], v[8:9], v[4:5]
	v_fmac_f64_e32 v[22:23], v[4:5], v[6:7]
	s_delay_alu instid0(VALU_DEP_3) | instskip(NEXT) | instid1(VALU_DEP_3)
	v_div_fixup_f64 v[4:5], v[16:17], v[14:15], 1.0
	v_fmac_f64_e32 v[18:19], v[2:3], v[6:7]
	s_delay_alu instid0(VALU_DEP_2) | instskip(NEXT) | instid1(VALU_DEP_2)
	v_mul_f64_e32 v[8:9], v[4:5], v[22:23]
	v_mul_f64_e32 v[6:7], v[4:5], v[18:19]
	s_delay_alu instid0(VALU_DEP_2) | instskip(NEXT) | instid1(VALU_DEP_2)
	v_mov_b64_e32 v[4:5], v[8:9]
	v_mov_b64_e32 v[2:3], v[6:7]
	global_store_b128 v[10:11], v[6:9], off
	s_mov_b32 s0, exec_lo
	s_wait_xcnt 0x0
	v_cmpx_gt_i32_e64 s24, v12
	s_cbranch_execnz .LBB60_26
	s_branch .LBB60_32
.LBB60_25:
	s_mov_b32 s13, -1
	s_mov_b32 s0, exec_lo
	s_wait_xcnt 0x0
	v_cmpx_gt_i32_e64 s24, v12
	s_cbranch_execz .LBB60_32
.LBB60_26:
	v_dual_mov_b32 v6, v13 :: v_dual_mov_b32 v7, v12
	s_mov_b32 s25, 0
	s_branch .LBB60_28
.LBB60_27:                              ;   in Loop: Header=BB60_28 Depth=1
	global_load_b128 v[14:17], v8, s[16:17] scale_offset
	global_load_b128 v[18:21], v6, s[20:21] scale_offset
	v_add_nc_u32_e32 v7, 32, v7
	s_delay_alu instid0(VALU_DEP_1)
	v_cmp_le_i32_e32 vcc_lo, s24, v7
	s_or_b32 s25, vcc_lo, s25
	s_wait_loadcnt 0x1
	s_wait_xcnt 0x1
	v_mul_f64_e64 v[8:9], v[16:17], -v[4:5]
	v_mul_f64_e32 v[10:11], v[2:3], v[16:17]
	s_delay_alu instid0(VALU_DEP_2) | instskip(NEXT) | instid1(VALU_DEP_2)
	v_fmac_f64_e32 v[8:9], v[2:3], v[14:15]
	v_fmac_f64_e32 v[10:11], v[4:5], v[14:15]
	s_wait_loadcnt 0x0
	s_delay_alu instid0(VALU_DEP_2) | instskip(NEXT) | instid1(VALU_DEP_2)
	v_add_f64_e64 v[8:9], v[18:19], -v[8:9]
	v_add_f64_e64 v[10:11], v[20:21], -v[10:11]
	global_store_b128 v6, v[8:11], s[20:21] scale_offset
	s_wait_xcnt 0x0
	v_add_nc_u32_e32 v6, s14, v6
	s_and_not1_b32 exec_lo, exec_lo, s25
	s_cbranch_execz .LBB60_32
.LBB60_28:                              ; =>This Inner Loop Header: Depth=1
	s_and_b32 vcc_lo, exec_lo, s10
	s_cbranch_vccz .LBB60_30
; %bb.29:                               ;   in Loop: Header=BB60_28 Depth=1
	v_add_nc_u32_e32 v8, s19, v7
	s_cbranch_execnz .LBB60_27
	s_branch .LBB60_31
.LBB60_30:                              ;   in Loop: Header=BB60_28 Depth=1
                                        ; implicit-def: $vgpr8
.LBB60_31:                              ;   in Loop: Header=BB60_28 Depth=1
	v_add_nc_u32_e32 v8, s11, v7
	s_delay_alu instid0(VALU_DEP_1)
	v_mad_u32 v8, v8, s18, s24
	s_branch .LBB60_27
.LBB60_32:
	s_or_b32 exec_lo, exec_lo, s0
; %bb.33:
	s_sub_co_i32 s19, s19, s18
	s_cmp_lt_i32 s23, 2
	s_cbranch_scc1 .LBB60_35
; %bb.34:
	s_mov_b32 s23, s24
	s_and_not1_b32 vcc_lo, exec_lo, s9
	s_add_co_i32 s24, s23, -1
	s_cbranch_vccnz .LBB60_21
	s_branch .LBB60_22
.LBB60_35:
	s_and_b32 s0, s13, exec_lo
.LBB60_36:
	s_or_b32 exec_lo, exec_lo, s8
	v_cmp_eq_u32_e32 vcc_lo, 0, v0
	global_wb scope:SCOPE_DEV
	s_wait_loadcnt 0x0
	s_wait_storecnt 0x0
	global_inv scope:SCOPE_DEV
	s_wait_loadcnt 0x0
	s_barrier_signal -1
	s_barrier_wait -1
	s_and_b32 s1, vcc_lo, s1
	s_delay_alu instid0(SALU_CYCLE_1)
	s_and_saveexec_b32 s7, s1
	s_cbranch_execz .LBB60_40
; %bb.37:
	s_add_co_i32 s1, s6, s15
	s_delay_alu instid0(SALU_CYCLE_1)
	v_dual_mov_b32 v0, 1 :: v_dual_mov_b32 v1, s1
	global_store_b32 v1, v0, s[4:5] scale_offset scope:SCOPE_DEV
	s_wait_xcnt 0x0
	s_and_b32 exec_lo, exec_lo, s0
	s_cbranch_execz .LBB60_40
; %bb.38:
	v_mbcnt_lo_u32_b32 v0, exec_lo, 0
	s_delay_alu instid0(VALU_DEP_1)
	v_cmp_eq_u32_e32 vcc_lo, 0, v0
	s_and_b32 exec_lo, exec_lo, vcc_lo
	s_cbranch_execz .LBB60_40
; %bb.39:
	s_add_co_i32 s0, s6, s12
	s_delay_alu instid0(SALU_CYCLE_1)
	v_dual_mov_b32 v0, 0 :: v_dual_mov_b32 v1, s0
	global_atomic_min_i32 v0, v1, s[2:3] scope:SCOPE_DEV
.LBB60_40:
	s_endpgm
	.section	.rodata,"a",@progbits
	.p2align	6, 0x0
	.amdhsa_kernel _ZN9rocsparseL24bsrsm_upper_large_kernelILj512ELj16ELb0E21rocsparse_complex_numIdEEEviiPKiS4_PKT2_iPS5_iPiS4_S9_21rocsparse_index_base_20rocsparse_diag_type_20rocsparse_direction_
		.amdhsa_group_segment_fixed_size 0
		.amdhsa_private_segment_fixed_size 0
		.amdhsa_kernarg_size 92
		.amdhsa_user_sgpr_count 2
		.amdhsa_user_sgpr_dispatch_ptr 0
		.amdhsa_user_sgpr_queue_ptr 0
		.amdhsa_user_sgpr_kernarg_segment_ptr 1
		.amdhsa_user_sgpr_dispatch_id 0
		.amdhsa_user_sgpr_kernarg_preload_length 0
		.amdhsa_user_sgpr_kernarg_preload_offset 0
		.amdhsa_user_sgpr_private_segment_size 0
		.amdhsa_wavefront_size32 1
		.amdhsa_uses_dynamic_stack 0
		.amdhsa_enable_private_segment 0
		.amdhsa_system_sgpr_workgroup_id_x 1
		.amdhsa_system_sgpr_workgroup_id_y 0
		.amdhsa_system_sgpr_workgroup_id_z 0
		.amdhsa_system_sgpr_workgroup_info 0
		.amdhsa_system_vgpr_workitem_id 0
		.amdhsa_next_free_vgpr 24
		.amdhsa_next_free_sgpr 36
		.amdhsa_named_barrier_count 0
		.amdhsa_reserve_vcc 1
		.amdhsa_float_round_mode_32 0
		.amdhsa_float_round_mode_16_64 0
		.amdhsa_float_denorm_mode_32 3
		.amdhsa_float_denorm_mode_16_64 3
		.amdhsa_fp16_overflow 0
		.amdhsa_memory_ordered 1
		.amdhsa_forward_progress 1
		.amdhsa_inst_pref_size 14
		.amdhsa_round_robin_scheduling 0
		.amdhsa_exception_fp_ieee_invalid_op 0
		.amdhsa_exception_fp_denorm_src 0
		.amdhsa_exception_fp_ieee_div_zero 0
		.amdhsa_exception_fp_ieee_overflow 0
		.amdhsa_exception_fp_ieee_underflow 0
		.amdhsa_exception_fp_ieee_inexact 0
		.amdhsa_exception_int_div_zero 0
	.end_amdhsa_kernel
	.section	.text._ZN9rocsparseL24bsrsm_upper_large_kernelILj512ELj16ELb0E21rocsparse_complex_numIdEEEviiPKiS4_PKT2_iPS5_iPiS4_S9_21rocsparse_index_base_20rocsparse_diag_type_20rocsparse_direction_,"axG",@progbits,_ZN9rocsparseL24bsrsm_upper_large_kernelILj512ELj16ELb0E21rocsparse_complex_numIdEEEviiPKiS4_PKT2_iPS5_iPiS4_S9_21rocsparse_index_base_20rocsparse_diag_type_20rocsparse_direction_,comdat
.Lfunc_end60:
	.size	_ZN9rocsparseL24bsrsm_upper_large_kernelILj512ELj16ELb0E21rocsparse_complex_numIdEEEviiPKiS4_PKT2_iPS5_iPiS4_S9_21rocsparse_index_base_20rocsparse_diag_type_20rocsparse_direction_, .Lfunc_end60-_ZN9rocsparseL24bsrsm_upper_large_kernelILj512ELj16ELb0E21rocsparse_complex_numIdEEEviiPKiS4_PKT2_iPS5_iPiS4_S9_21rocsparse_index_base_20rocsparse_diag_type_20rocsparse_direction_
                                        ; -- End function
	.set _ZN9rocsparseL24bsrsm_upper_large_kernelILj512ELj16ELb0E21rocsparse_complex_numIdEEEviiPKiS4_PKT2_iPS5_iPiS4_S9_21rocsparse_index_base_20rocsparse_diag_type_20rocsparse_direction_.num_vgpr, 24
	.set _ZN9rocsparseL24bsrsm_upper_large_kernelILj512ELj16ELb0E21rocsparse_complex_numIdEEEviiPKiS4_PKT2_iPS5_iPiS4_S9_21rocsparse_index_base_20rocsparse_diag_type_20rocsparse_direction_.num_agpr, 0
	.set _ZN9rocsparseL24bsrsm_upper_large_kernelILj512ELj16ELb0E21rocsparse_complex_numIdEEEviiPKiS4_PKT2_iPS5_iPiS4_S9_21rocsparse_index_base_20rocsparse_diag_type_20rocsparse_direction_.numbered_sgpr, 36
	.set _ZN9rocsparseL24bsrsm_upper_large_kernelILj512ELj16ELb0E21rocsparse_complex_numIdEEEviiPKiS4_PKT2_iPS5_iPiS4_S9_21rocsparse_index_base_20rocsparse_diag_type_20rocsparse_direction_.num_named_barrier, 0
	.set _ZN9rocsparseL24bsrsm_upper_large_kernelILj512ELj16ELb0E21rocsparse_complex_numIdEEEviiPKiS4_PKT2_iPS5_iPiS4_S9_21rocsparse_index_base_20rocsparse_diag_type_20rocsparse_direction_.private_seg_size, 0
	.set _ZN9rocsparseL24bsrsm_upper_large_kernelILj512ELj16ELb0E21rocsparse_complex_numIdEEEviiPKiS4_PKT2_iPS5_iPiS4_S9_21rocsparse_index_base_20rocsparse_diag_type_20rocsparse_direction_.uses_vcc, 1
	.set _ZN9rocsparseL24bsrsm_upper_large_kernelILj512ELj16ELb0E21rocsparse_complex_numIdEEEviiPKiS4_PKT2_iPS5_iPiS4_S9_21rocsparse_index_base_20rocsparse_diag_type_20rocsparse_direction_.uses_flat_scratch, 0
	.set _ZN9rocsparseL24bsrsm_upper_large_kernelILj512ELj16ELb0E21rocsparse_complex_numIdEEEviiPKiS4_PKT2_iPS5_iPiS4_S9_21rocsparse_index_base_20rocsparse_diag_type_20rocsparse_direction_.has_dyn_sized_stack, 0
	.set _ZN9rocsparseL24bsrsm_upper_large_kernelILj512ELj16ELb0E21rocsparse_complex_numIdEEEviiPKiS4_PKT2_iPS5_iPiS4_S9_21rocsparse_index_base_20rocsparse_diag_type_20rocsparse_direction_.has_recursion, 0
	.set _ZN9rocsparseL24bsrsm_upper_large_kernelILj512ELj16ELb0E21rocsparse_complex_numIdEEEviiPKiS4_PKT2_iPS5_iPiS4_S9_21rocsparse_index_base_20rocsparse_diag_type_20rocsparse_direction_.has_indirect_call, 0
	.section	.AMDGPU.csdata,"",@progbits
; Kernel info:
; codeLenInByte = 1756
; TotalNumSgprs: 38
; NumVgprs: 24
; ScratchSize: 0
; MemoryBound: 0
; FloatMode: 240
; IeeeMode: 1
; LDSByteSize: 0 bytes/workgroup (compile time only)
; SGPRBlocks: 0
; VGPRBlocks: 1
; NumSGPRsForWavesPerEU: 38
; NumVGPRsForWavesPerEU: 24
; NamedBarCnt: 0
; Occupancy: 16
; WaveLimiterHint : 1
; COMPUTE_PGM_RSRC2:SCRATCH_EN: 0
; COMPUTE_PGM_RSRC2:USER_SGPR: 2
; COMPUTE_PGM_RSRC2:TRAP_HANDLER: 0
; COMPUTE_PGM_RSRC2:TGID_X_EN: 1
; COMPUTE_PGM_RSRC2:TGID_Y_EN: 0
; COMPUTE_PGM_RSRC2:TGID_Z_EN: 0
; COMPUTE_PGM_RSRC2:TIDIG_COMP_CNT: 0
	.section	.text._ZN9rocsparseL24bsrsm_lower_large_kernelILj512ELj16ELb0E21rocsparse_complex_numIdEEEviiPKiS4_PKT2_iPS5_iPiS4_S9_21rocsparse_index_base_20rocsparse_diag_type_20rocsparse_direction_,"axG",@progbits,_ZN9rocsparseL24bsrsm_lower_large_kernelILj512ELj16ELb0E21rocsparse_complex_numIdEEEviiPKiS4_PKT2_iPS5_iPiS4_S9_21rocsparse_index_base_20rocsparse_diag_type_20rocsparse_direction_,comdat
	.globl	_ZN9rocsparseL24bsrsm_lower_large_kernelILj512ELj16ELb0E21rocsparse_complex_numIdEEEviiPKiS4_PKT2_iPS5_iPiS4_S9_21rocsparse_index_base_20rocsparse_diag_type_20rocsparse_direction_ ; -- Begin function _ZN9rocsparseL24bsrsm_lower_large_kernelILj512ELj16ELb0E21rocsparse_complex_numIdEEEviiPKiS4_PKT2_iPS5_iPiS4_S9_21rocsparse_index_base_20rocsparse_diag_type_20rocsparse_direction_
	.p2align	8
	.type	_ZN9rocsparseL24bsrsm_lower_large_kernelILj512ELj16ELb0E21rocsparse_complex_numIdEEEviiPKiS4_PKT2_iPS5_iPiS4_S9_21rocsparse_index_base_20rocsparse_diag_type_20rocsparse_direction_,@function
_ZN9rocsparseL24bsrsm_lower_large_kernelILj512ELj16ELb0E21rocsparse_complex_numIdEEEviiPKiS4_PKT2_iPS5_iPiS4_S9_21rocsparse_index_base_20rocsparse_diag_type_20rocsparse_direction_: ; @_ZN9rocsparseL24bsrsm_lower_large_kernelILj512ELj16ELb0E21rocsparse_complex_numIdEEEviiPKiS4_PKT2_iPS5_iPiS4_S9_21rocsparse_index_base_20rocsparse_diag_type_20rocsparse_direction_
; %bb.0:
	s_clause 0x1
	s_load_b64 s[24:25], s[0:1], 0x0
	s_load_b128 s[8:11], s[0:1], 0x8
	s_bfe_u32 s4, ttmp6, 0x4000c
	s_and_b32 s3, ttmp6, 15
	s_add_co_i32 s4, s4, 1
	s_getreg_b32 s5, hwreg(HW_REG_IB_STS2, 6, 4)
	s_mul_i32 s4, ttmp9, s4
	v_dual_lshrrev_b32 v6, 5, v0 :: v_dual_bitop2_b32 v7, 31, v0 bitop3:0x40
	s_add_co_i32 s3, s3, s4
	s_wait_kmcnt 0x0
	s_cvt_f32_u32 s2, s24
	s_sub_co_i32 s6, 0, s24
	s_delay_alu instid0(SALU_CYCLE_2) | instskip(SKIP_1) | instid1(TRANS32_DEP_1)
	v_rcp_iflag_f32_e32 v1, s2
	v_nop
	v_readfirstlane_b32 s2, v1
	s_mul_f32 s2, s2, 0x4f7ffffe
	s_delay_alu instid0(SALU_CYCLE_3) | instskip(NEXT) | instid1(SALU_CYCLE_3)
	s_cvt_u32_f32 s2, s2
	s_mul_i32 s6, s6, s2
	s_delay_alu instid0(SALU_CYCLE_1) | instskip(NEXT) | instid1(SALU_CYCLE_1)
	s_mul_hi_u32 s6, s2, s6
	s_add_co_i32 s2, s2, s6
	s_cmp_eq_u32 s5, 0
	s_load_b128 s[4:7], s[0:1], 0x38
	s_cselect_b32 s3, ttmp9, s3
	s_delay_alu instid0(SALU_CYCLE_1) | instskip(NEXT) | instid1(SALU_CYCLE_1)
	s_mul_hi_u32 s2, s3, s2
	s_mul_i32 s12, s2, s24
	s_add_co_i32 s13, s2, 1
	s_sub_co_i32 s12, s3, s12
	s_delay_alu instid0(SALU_CYCLE_1)
	s_sub_co_i32 s14, s12, s24
	s_cmp_ge_u32 s12, s24
	s_cselect_b32 s2, s13, s2
	s_cselect_b32 s12, s14, s12
	s_add_co_i32 s13, s2, 1
	s_cmp_ge_u32 s12, s24
	s_cselect_b32 s19, s13, s2
	s_delay_alu instid0(SALU_CYCLE_1) | instskip(SKIP_4) | instid1(SALU_CYCLE_1)
	s_mul_i32 s15, s19, s24
	s_lshl_b32 s19, s19, 4
	s_sub_co_i32 s2, s3, s15
	v_or_b32_e32 v1, s19, v6
	s_ashr_i32 s3, s2, 31
	s_lshl_b64 s[12:13], s[2:3], 2
	s_load_b64 s[2:3], s[0:1], 0x48
	s_wait_kmcnt 0x0
	s_add_nc_u64 s[6:7], s[6:7], s[12:13]
	v_cmp_gt_i32_e32 vcc_lo, s25, v1
	s_load_b32 s6, s[6:7], 0x0
	s_wait_kmcnt 0x0
	s_ashr_i32 s7, s6, 31
	s_delay_alu instid0(SALU_CYCLE_1) | instskip(NEXT) | instid1(SALU_CYCLE_1)
	s_lshl_b64 s[12:13], s[6:7], 2
	s_add_nc_u64 s[26:27], s[8:9], s[12:13]
	s_load_b96 s[12:14], s[0:1], 0x50
	s_load_b64 s[8:9], s[26:27], 0x0
	s_clause 0x1
	s_load_b96 s[16:18], s[0:1], 0x18
	s_load_b96 s[20:22], s[0:1], 0x28
	s_wait_xcnt 0x0
	v_cmp_eq_u32_e64 s0, 0, v0
	s_wait_kmcnt 0x0
	s_sub_co_i32 s23, s8, s12
	s_cmp_ge_i32 s8, s9
	s_mul_i32 s7, s6, s18
	s_mul_i32 s26, s18, s18
	s_cbranch_scc1 .LBB61_18
; %bb.1:
	v_mad_u32 v2, s18, s23, v7
	v_cmp_gt_i32_e64 s1, s18, v7
	s_sub_co_i32 s27, s9, s12
	v_mov_b32_e32 v9, 0
	s_cmp_lg_u32 s14, 0
	s_mul_i32 s30, s22, s18
	s_cselect_b32 s28, -1, 0
	s_and_b32 s1, vcc_lo, s1
	s_lshl_b32 s31, s18, 5
	v_mul_lo_u32 v8, s18, v2
	s_branch .LBB61_3
.LBB61_2:                               ;   in Loop: Header=BB61_3 Depth=1
                                        ; implicit-def: $vgpr8
	s_and_b32 vcc_lo, exec_lo, s8
	s_cbranch_vccnz .LBB61_19
.LBB61_3:                               ; =>This Loop Header: Depth=1
                                        ;     Child Loop BB61_7 Depth 2
                                        ;     Child Loop BB61_11 Depth 2
                                        ;       Child Loop BB61_13 Depth 3
	s_wait_xcnt 0x0
	v_mov_b32_e32 v2, s23
	global_load_b32 v2, v2, s[10:11] scale_offset
	s_wait_loadcnt 0x0
	v_readfirstlane_b32 s8, v2
	s_sub_co_i32 s29, s8, s12
	s_mov_b32 s8, -1
	s_cmp_ge_i32 s29, s6
	s_cbranch_scc1 .LBB61_2
; %bb.4:                                ;   in Loop: Header=BB61_3 Depth=1
	s_wait_xcnt 0x0
	s_and_saveexec_b32 s33, s0
	s_cbranch_execz .LBB61_8
; %bb.5:                                ;   in Loop: Header=BB61_3 Depth=1
	s_add_co_i32 s8, s29, s15
	s_delay_alu instid0(SALU_CYCLE_1)
	v_mov_b32_e32 v2, s8
	global_load_b32 v2, v2, s[4:5] scale_offset scope:SCOPE_DEV
	s_wait_loadcnt 0x0
	v_cmp_ne_u32_e32 vcc_lo, 0, v2
	s_cbranch_vccnz .LBB61_8
; %bb.6:                                ;   in Loop: Header=BB61_3 Depth=1
	s_ashr_i32 s9, s8, 31
	s_delay_alu instid0(SALU_CYCLE_1) | instskip(NEXT) | instid1(SALU_CYCLE_1)
	s_lshl_b64 s[8:9], s[8:9], 2
	s_add_nc_u64 s[8:9], s[4:5], s[8:9]
.LBB61_7:                               ;   Parent Loop BB61_3 Depth=1
                                        ; =>  This Inner Loop Header: Depth=2
	global_load_b32 v2, v9, s[8:9] scope:SCOPE_DEV
	s_wait_loadcnt 0x0
	v_cmp_eq_u32_e32 vcc_lo, 0, v2
	s_cbranch_vccnz .LBB61_7
.LBB61_8:                               ;   in Loop: Header=BB61_3 Depth=1
	s_wait_xcnt 0x0
	s_or_b32 exec_lo, exec_lo, s33
	global_wb scope:SCOPE_DEV
	s_wait_storecnt 0x0
	global_inv scope:SCOPE_DEV
	s_wait_loadcnt 0x0
	s_barrier_signal -1
	s_barrier_wait -1
	s_and_saveexec_b32 s8, s1
	s_cbranch_execz .LBB61_17
; %bb.9:                                ;   in Loop: Header=BB61_3 Depth=1
	v_mad_u32 v10, s30, s29, v1
	v_dual_mov_b32 v11, v8 :: v_dual_mov_b32 v12, v7
	s_mul_i32 s9, s23, s18
	s_mov_b32 s33, 0
	s_branch .LBB61_11
.LBB61_10:                              ;   in Loop: Header=BB61_11 Depth=2
	v_dual_add_nc_u32 v13, s7, v12 :: v_dual_add_nc_u32 v12, 32, v12
	v_add_nc_u32_e32 v11, s31, v11
	s_delay_alu instid0(VALU_DEP_2) | instskip(NEXT) | instid1(VALU_DEP_3)
	v_mad_u32 v13, v13, s22, v1
	v_cmp_le_i32_e32 vcc_lo, s18, v12
	s_or_b32 s33, vcc_lo, s33
	global_load_b128 v[14:17], v13, s[20:21] scale_offset
	s_wait_loadcnt 0x0
	v_add_f64_e64 v[14:15], v[14:15], -v[4:5]
	v_add_f64_e64 v[16:17], v[16:17], -v[2:3]
	global_store_b128 v13, v[14:17], s[20:21] scale_offset
	s_wait_xcnt 0x0
	s_and_not1_b32 exec_lo, exec_lo, s33
	s_cbranch_execz .LBB61_17
.LBB61_11:                              ;   Parent Loop BB61_3 Depth=1
                                        ; =>  This Loop Header: Depth=2
                                        ;       Child Loop BB61_13 Depth 3
	v_mov_b64_e32 v[2:3], 0
	v_mov_b64_e32 v[4:5], 0
	s_delay_alu instid0(VALU_DEP_4)
	v_mov_b32_e32 v13, v10
	s_mov_b32 s34, 0
	s_branch .LBB61_13
.LBB61_12:                              ;   in Loop: Header=BB61_13 Depth=3
	global_load_b128 v[16:19], v14, s[16:17] scale_offset
	global_load_b128 v[20:23], v13, s[20:21] scale_offset
	s_add_co_i32 s34, s34, 1
	s_wait_xcnt 0x0
	v_add_nc_u32_e32 v13, s22, v13
	s_cmp_eq_u32 s18, s34
	s_wait_loadcnt 0x0
	v_fmac_f64_e32 v[4:5], v[16:17], v[20:21]
	v_fmac_f64_e32 v[2:3], v[18:19], v[20:21]
	s_delay_alu instid0(VALU_DEP_2) | instskip(NEXT) | instid1(VALU_DEP_2)
	v_fma_f64 v[4:5], -v[18:19], v[22:23], v[4:5]
	v_fmac_f64_e32 v[2:3], v[16:17], v[22:23]
	s_cbranch_scc1 .LBB61_10
.LBB61_13:                              ;   Parent Loop BB61_3 Depth=1
                                        ;     Parent Loop BB61_11 Depth=2
                                        ; =>    This Inner Loop Header: Depth=3
	s_and_b32 vcc_lo, exec_lo, s28
	s_cbranch_vccz .LBB61_15
; %bb.14:                               ;   in Loop: Header=BB61_13 Depth=3
	s_add_co_i32 s35, s34, s9
	s_delay_alu instid0(SALU_CYCLE_1)
	v_mad_u32 v14, s35, s18, v12
	s_cbranch_execnz .LBB61_12
	s_branch .LBB61_16
.LBB61_15:                              ;   in Loop: Header=BB61_13 Depth=3
                                        ; implicit-def: $vgpr14
.LBB61_16:                              ;   in Loop: Header=BB61_13 Depth=3
	v_add_nc_u32_e32 v14, s34, v11
	s_branch .LBB61_12
.LBB61_17:                              ;   in Loop: Header=BB61_3 Depth=1
	s_or_b32 exec_lo, exec_lo, s8
	s_add_co_i32 s23, s23, 1
	v_add_nc_u32_e32 v8, s26, v8
	s_cmp_ge_i32 s23, s27
	s_cselect_b32 s8, -1, 0
	s_delay_alu instid0(SALU_CYCLE_1)
	s_and_b32 vcc_lo, exec_lo, s8
	s_cbranch_vccz .LBB61_3
	s_branch .LBB61_19
.LBB61_18:
	s_mov_b32 s29, s24
.LBB61_19:
	s_cmp_lt_i32 s6, s24
	v_cmp_gt_i32_e32 vcc_lo, s25, v1
	s_cselect_b32 s1, -1, 0
	s_cmp_eq_u32 s6, s29
	s_cselect_b32 s0, -1, 0
	s_delay_alu instid0(SALU_CYCLE_1) | instskip(SKIP_2) | instid1(SALU_CYCLE_1)
	s_and_b32 s0, vcc_lo, s0
	s_cmp_gt_i32 s18, 0
	s_cselect_b32 s8, -1, 0
	s_and_b32 s8, s0, s8
	s_mov_b32 s0, 0
	s_and_b32 s9, s8, s1
	s_wait_xcnt 0x0
	s_and_saveexec_b32 s8, s9
	s_cbranch_execz .LBB61_35
; %bb.20:
	v_dual_add_nc_u32 v2, s7, v7 :: v_dual_add_nc_u32 v12, 1, v7
	s_cmp_eq_u32 s13, 0
	s_mov_b32 s9, 0
	s_cselect_b32 s10, -1, 0
	s_delay_alu instid0(VALU_DEP_1)
	v_mad_u32 v2, s22, v2, s22
	s_cmp_lg_u32 s14, 0
	s_mul_i32 s11, s23, s18
	s_cselect_b32 s13, -1, 0
	s_lshl_b32 s14, s22, 5
	s_mov_b32 s24, 0
	s_delay_alu instid0(VALU_DEP_1)
	v_add3_u32 v13, v6, v2, s19
	s_mul_i32 s19, s23, s26
	s_add_co_i32 s23, s18, 1
	s_branch .LBB61_22
.LBB61_21:                              ;   in Loop: Header=BB61_22 Depth=1
	s_or_b32 exec_lo, exec_lo, s0
	v_add_nc_u32_e32 v13, s22, v13
	s_add_co_i32 s9, s9, 1
	s_add_co_i32 s19, s19, s23
	s_cmp_eq_u32 s9, s18
	s_cbranch_scc1 .LBB61_34
.LBB61_22:                              ; =>This Loop Header: Depth=1
                                        ;     Child Loop BB61_30 Depth 2
	s_and_not1_b32 vcc_lo, exec_lo, s10
	s_cbranch_vccz .LBB61_24
; %bb.23:                               ;   in Loop: Header=BB61_22 Depth=1
	v_mov_b64_e32 v[8:9], 0
	v_mov_b64_e32 v[6:7], 1.0
	s_branch .LBB61_25
.LBB61_24:                              ;   in Loop: Header=BB61_22 Depth=1
	s_add_co_i32 s0, s9, s11
	s_delay_alu instid0(SALU_CYCLE_1) | instskip(NEXT) | instid1(SALU_CYCLE_1)
	s_mul_i32 s0, s0, s18
	s_add_co_i32 s0, s0, s9
	s_wait_loadcnt 0x0
	v_mov_b32_e32 v2, s0
	global_load_b128 v[6:9], v2, s[16:17] scale_offset
.LBB61_25:                              ;   in Loop: Header=BB61_22 Depth=1
	s_add_co_i32 s0, s9, s7
	s_wait_loadcnt 0x0
	s_delay_alu instid0(VALU_DEP_1) | instskip(SKIP_4) | instid1(SALU_CYCLE_1)
	v_cmp_eq_f64_e32 vcc_lo, 0, v[6:7]
	v_mad_u32 v10, s0, s22, v1
	v_cmp_eq_f64_e64 s0, 0, v[8:9]
	global_load_b128 v[2:5], v10, s[20:21] scale_offset
	s_and_b32 s0, vcc_lo, s0
	s_and_b32 vcc_lo, exec_lo, s0
	s_cbranch_vccnz .LBB61_27
; %bb.26:                               ;   in Loop: Header=BB61_22 Depth=1
	v_dual_mul_f64 v[14:15], v[8:9], v[8:9] :: v_dual_ashrrev_i32 v11, 31, v10
	s_wait_xcnt 0x0
	s_delay_alu instid0(VALU_DEP_1) | instskip(NEXT) | instid1(VALU_DEP_2)
	v_lshl_add_u64 v[10:11], v[10:11], 4, s[20:21]
	v_fmac_f64_e32 v[14:15], v[6:7], v[6:7]
	s_delay_alu instid0(VALU_DEP_1) | instskip(SKIP_1) | instid1(VALU_DEP_2)
	v_div_scale_f64 v[16:17], null, v[14:15], v[14:15], 1.0
	v_div_scale_f64 v[22:23], vcc_lo, 1.0, v[14:15], 1.0
	v_rcp_f64_e32 v[18:19], v[16:17]
	v_nop
	s_delay_alu instid0(TRANS32_DEP_1) | instskip(NEXT) | instid1(VALU_DEP_1)
	v_fma_f64 v[20:21], -v[16:17], v[18:19], 1.0
	v_fmac_f64_e32 v[18:19], v[18:19], v[20:21]
	s_delay_alu instid0(VALU_DEP_1) | instskip(NEXT) | instid1(VALU_DEP_1)
	v_fma_f64 v[20:21], -v[16:17], v[18:19], 1.0
	v_fmac_f64_e32 v[18:19], v[18:19], v[20:21]
	s_delay_alu instid0(VALU_DEP_1) | instskip(NEXT) | instid1(VALU_DEP_1)
	v_mul_f64_e32 v[20:21], v[22:23], v[18:19]
	v_fma_f64 v[16:17], -v[16:17], v[20:21], v[22:23]
	s_wait_loadcnt 0x0
	v_mul_f64_e64 v[22:23], v[8:9], -v[2:3]
	s_delay_alu instid0(VALU_DEP_2) | instskip(SKIP_1) | instid1(VALU_DEP_3)
	v_div_fmas_f64 v[16:17], v[16:17], v[18:19], v[20:21]
	v_mul_f64_e32 v[18:19], v[8:9], v[4:5]
	v_fmac_f64_e32 v[22:23], v[4:5], v[6:7]
	s_delay_alu instid0(VALU_DEP_3) | instskip(NEXT) | instid1(VALU_DEP_3)
	v_div_fixup_f64 v[4:5], v[16:17], v[14:15], 1.0
	v_fmac_f64_e32 v[18:19], v[2:3], v[6:7]
	s_delay_alu instid0(VALU_DEP_2) | instskip(NEXT) | instid1(VALU_DEP_2)
	v_mul_f64_e32 v[8:9], v[4:5], v[22:23]
	v_mul_f64_e32 v[6:7], v[4:5], v[18:19]
	s_delay_alu instid0(VALU_DEP_2) | instskip(NEXT) | instid1(VALU_DEP_2)
	v_mov_b64_e32 v[4:5], v[8:9]
	v_mov_b64_e32 v[2:3], v[6:7]
	global_store_b128 v[10:11], v[6:9], off
	s_wait_xcnt 0x0
	v_add_nc_u32_e32 v6, s9, v12
	s_mov_b32 s0, exec_lo
	s_delay_alu instid0(VALU_DEP_1)
	v_cmpx_gt_i32_e64 s18, v6
	s_cbranch_execz .LBB61_21
	s_branch .LBB61_28
.LBB61_27:                              ;   in Loop: Header=BB61_22 Depth=1
	s_mov_b32 s24, -1
	v_add_nc_u32_e32 v6, s9, v12
	s_mov_b32 s0, exec_lo
	s_wait_xcnt 0x0
	s_delay_alu instid0(VALU_DEP_1)
	v_cmpx_gt_i32_e64 s18, v6
	s_cbranch_execz .LBB61_21
.LBB61_28:                              ;   in Loop: Header=BB61_22 Depth=1
	v_dual_mov_b32 v7, v13 :: v_dual_mov_b32 v8, v12
	s_mov_b32 s25, 0
	s_branch .LBB61_30
.LBB61_29:                              ;   in Loop: Header=BB61_30 Depth=2
	global_load_b128 v[14:17], v9, s[16:17] scale_offset
	global_load_b128 v[18:21], v7, s[20:21] scale_offset
	v_dual_add_nc_u32 v6, 32, v6 :: v_dual_add_nc_u32 v8, 32, v8
	s_wait_xcnt 0x1
	s_delay_alu instid0(VALU_DEP_1) | instskip(NEXT) | instid1(VALU_DEP_1)
	v_add_nc_u32_e32 v9, s9, v8
	v_cmp_le_i32_e32 vcc_lo, s18, v9
	s_or_b32 s25, vcc_lo, s25
	s_wait_loadcnt 0x1
	v_mul_f64_e64 v[10:11], v[16:17], -v[4:5]
	v_mul_f64_e32 v[16:17], v[2:3], v[16:17]
	s_delay_alu instid0(VALU_DEP_2) | instskip(NEXT) | instid1(VALU_DEP_2)
	v_fmac_f64_e32 v[10:11], v[2:3], v[14:15]
	v_fmac_f64_e32 v[16:17], v[4:5], v[14:15]
	s_wait_loadcnt 0x0
	s_delay_alu instid0(VALU_DEP_2) | instskip(NEXT) | instid1(VALU_DEP_2)
	v_add_f64_e64 v[14:15], v[18:19], -v[10:11]
	v_add_f64_e64 v[16:17], v[20:21], -v[16:17]
	global_store_b128 v7, v[14:17], s[20:21] scale_offset
	s_wait_xcnt 0x0
	v_add_nc_u32_e32 v7, s14, v7
	s_and_not1_b32 exec_lo, exec_lo, s25
	s_cbranch_execz .LBB61_21
.LBB61_30:                              ;   Parent Loop BB61_22 Depth=1
                                        ; =>  This Inner Loop Header: Depth=2
	s_and_b32 vcc_lo, exec_lo, s13
	s_cbranch_vccz .LBB61_32
; %bb.31:                               ;   in Loop: Header=BB61_30 Depth=2
	v_add_nc_u32_e32 v9, s19, v8
	s_cbranch_execnz .LBB61_29
	s_branch .LBB61_33
.LBB61_32:                              ;   in Loop: Header=BB61_30 Depth=2
                                        ; implicit-def: $vgpr9
.LBB61_33:                              ;   in Loop: Header=BB61_30 Depth=2
	v_add_nc_u32_e32 v9, s11, v6
	s_delay_alu instid0(VALU_DEP_1)
	v_mad_u32 v9, v9, s18, s9
	s_branch .LBB61_29
.LBB61_34:
	s_and_b32 s0, s24, exec_lo
.LBB61_35:
	s_or_b32 exec_lo, exec_lo, s8
	v_cmp_eq_u32_e32 vcc_lo, 0, v0
	global_wb scope:SCOPE_DEV
	s_wait_loadcnt 0x0
	s_wait_storecnt 0x0
	global_inv scope:SCOPE_DEV
	s_wait_loadcnt 0x0
	s_barrier_signal -1
	s_barrier_wait -1
	s_and_b32 s1, vcc_lo, s1
	s_delay_alu instid0(SALU_CYCLE_1)
	s_and_saveexec_b32 s7, s1
	s_cbranch_execz .LBB61_39
; %bb.36:
	s_add_co_i32 s1, s6, s15
	s_delay_alu instid0(SALU_CYCLE_1)
	v_dual_mov_b32 v0, 1 :: v_dual_mov_b32 v1, s1
	global_store_b32 v1, v0, s[4:5] scale_offset scope:SCOPE_DEV
	s_wait_xcnt 0x0
	s_and_b32 exec_lo, exec_lo, s0
	s_cbranch_execz .LBB61_39
; %bb.37:
	v_mbcnt_lo_u32_b32 v0, exec_lo, 0
	s_delay_alu instid0(VALU_DEP_1)
	v_cmp_eq_u32_e32 vcc_lo, 0, v0
	s_and_b32 exec_lo, exec_lo, vcc_lo
	s_cbranch_execz .LBB61_39
; %bb.38:
	s_add_co_i32 s0, s6, s12
	s_delay_alu instid0(SALU_CYCLE_1)
	v_dual_mov_b32 v0, 0 :: v_dual_mov_b32 v1, s0
	global_atomic_min_i32 v0, v1, s[2:3] scope:SCOPE_DEV
.LBB61_39:
	s_endpgm
	.section	.rodata,"a",@progbits
	.p2align	6, 0x0
	.amdhsa_kernel _ZN9rocsparseL24bsrsm_lower_large_kernelILj512ELj16ELb0E21rocsparse_complex_numIdEEEviiPKiS4_PKT2_iPS5_iPiS4_S9_21rocsparse_index_base_20rocsparse_diag_type_20rocsparse_direction_
		.amdhsa_group_segment_fixed_size 0
		.amdhsa_private_segment_fixed_size 0
		.amdhsa_kernarg_size 92
		.amdhsa_user_sgpr_count 2
		.amdhsa_user_sgpr_dispatch_ptr 0
		.amdhsa_user_sgpr_queue_ptr 0
		.amdhsa_user_sgpr_kernarg_segment_ptr 1
		.amdhsa_user_sgpr_dispatch_id 0
		.amdhsa_user_sgpr_kernarg_preload_length 0
		.amdhsa_user_sgpr_kernarg_preload_offset 0
		.amdhsa_user_sgpr_private_segment_size 0
		.amdhsa_wavefront_size32 1
		.amdhsa_uses_dynamic_stack 0
		.amdhsa_enable_private_segment 0
		.amdhsa_system_sgpr_workgroup_id_x 1
		.amdhsa_system_sgpr_workgroup_id_y 0
		.amdhsa_system_sgpr_workgroup_id_z 0
		.amdhsa_system_sgpr_workgroup_info 0
		.amdhsa_system_vgpr_workitem_id 0
		.amdhsa_next_free_vgpr 24
		.amdhsa_next_free_sgpr 36
		.amdhsa_named_barrier_count 0
		.amdhsa_reserve_vcc 1
		.amdhsa_float_round_mode_32 0
		.amdhsa_float_round_mode_16_64 0
		.amdhsa_float_denorm_mode_32 3
		.amdhsa_float_denorm_mode_16_64 3
		.amdhsa_fp16_overflow 0
		.amdhsa_memory_ordered 1
		.amdhsa_forward_progress 1
		.amdhsa_inst_pref_size 14
		.amdhsa_round_robin_scheduling 0
		.amdhsa_exception_fp_ieee_invalid_op 0
		.amdhsa_exception_fp_denorm_src 0
		.amdhsa_exception_fp_ieee_div_zero 0
		.amdhsa_exception_fp_ieee_overflow 0
		.amdhsa_exception_fp_ieee_underflow 0
		.amdhsa_exception_fp_ieee_inexact 0
		.amdhsa_exception_int_div_zero 0
	.end_amdhsa_kernel
	.section	.text._ZN9rocsparseL24bsrsm_lower_large_kernelILj512ELj16ELb0E21rocsparse_complex_numIdEEEviiPKiS4_PKT2_iPS5_iPiS4_S9_21rocsparse_index_base_20rocsparse_diag_type_20rocsparse_direction_,"axG",@progbits,_ZN9rocsparseL24bsrsm_lower_large_kernelILj512ELj16ELb0E21rocsparse_complex_numIdEEEviiPKiS4_PKT2_iPS5_iPiS4_S9_21rocsparse_index_base_20rocsparse_diag_type_20rocsparse_direction_,comdat
.Lfunc_end61:
	.size	_ZN9rocsparseL24bsrsm_lower_large_kernelILj512ELj16ELb0E21rocsparse_complex_numIdEEEviiPKiS4_PKT2_iPS5_iPiS4_S9_21rocsparse_index_base_20rocsparse_diag_type_20rocsparse_direction_, .Lfunc_end61-_ZN9rocsparseL24bsrsm_lower_large_kernelILj512ELj16ELb0E21rocsparse_complex_numIdEEEviiPKiS4_PKT2_iPS5_iPiS4_S9_21rocsparse_index_base_20rocsparse_diag_type_20rocsparse_direction_
                                        ; -- End function
	.set _ZN9rocsparseL24bsrsm_lower_large_kernelILj512ELj16ELb0E21rocsparse_complex_numIdEEEviiPKiS4_PKT2_iPS5_iPiS4_S9_21rocsparse_index_base_20rocsparse_diag_type_20rocsparse_direction_.num_vgpr, 24
	.set _ZN9rocsparseL24bsrsm_lower_large_kernelILj512ELj16ELb0E21rocsparse_complex_numIdEEEviiPKiS4_PKT2_iPS5_iPiS4_S9_21rocsparse_index_base_20rocsparse_diag_type_20rocsparse_direction_.num_agpr, 0
	.set _ZN9rocsparseL24bsrsm_lower_large_kernelILj512ELj16ELb0E21rocsparse_complex_numIdEEEviiPKiS4_PKT2_iPS5_iPiS4_S9_21rocsparse_index_base_20rocsparse_diag_type_20rocsparse_direction_.numbered_sgpr, 36
	.set _ZN9rocsparseL24bsrsm_lower_large_kernelILj512ELj16ELb0E21rocsparse_complex_numIdEEEviiPKiS4_PKT2_iPS5_iPiS4_S9_21rocsparse_index_base_20rocsparse_diag_type_20rocsparse_direction_.num_named_barrier, 0
	.set _ZN9rocsparseL24bsrsm_lower_large_kernelILj512ELj16ELb0E21rocsparse_complex_numIdEEEviiPKiS4_PKT2_iPS5_iPiS4_S9_21rocsparse_index_base_20rocsparse_diag_type_20rocsparse_direction_.private_seg_size, 0
	.set _ZN9rocsparseL24bsrsm_lower_large_kernelILj512ELj16ELb0E21rocsparse_complex_numIdEEEviiPKiS4_PKT2_iPS5_iPiS4_S9_21rocsparse_index_base_20rocsparse_diag_type_20rocsparse_direction_.uses_vcc, 1
	.set _ZN9rocsparseL24bsrsm_lower_large_kernelILj512ELj16ELb0E21rocsparse_complex_numIdEEEviiPKiS4_PKT2_iPS5_iPiS4_S9_21rocsparse_index_base_20rocsparse_diag_type_20rocsparse_direction_.uses_flat_scratch, 0
	.set _ZN9rocsparseL24bsrsm_lower_large_kernelILj512ELj16ELb0E21rocsparse_complex_numIdEEEviiPKiS4_PKT2_iPS5_iPiS4_S9_21rocsparse_index_base_20rocsparse_diag_type_20rocsparse_direction_.has_dyn_sized_stack, 0
	.set _ZN9rocsparseL24bsrsm_lower_large_kernelILj512ELj16ELb0E21rocsparse_complex_numIdEEEviiPKiS4_PKT2_iPS5_iPiS4_S9_21rocsparse_index_base_20rocsparse_diag_type_20rocsparse_direction_.has_recursion, 0
	.set _ZN9rocsparseL24bsrsm_lower_large_kernelILj512ELj16ELb0E21rocsparse_complex_numIdEEEviiPKiS4_PKT2_iPS5_iPiS4_S9_21rocsparse_index_base_20rocsparse_diag_type_20rocsparse_direction_.has_indirect_call, 0
	.section	.AMDGPU.csdata,"",@progbits
; Kernel info:
; codeLenInByte = 1776
; TotalNumSgprs: 38
; NumVgprs: 24
; ScratchSize: 0
; MemoryBound: 0
; FloatMode: 240
; IeeeMode: 1
; LDSByteSize: 0 bytes/workgroup (compile time only)
; SGPRBlocks: 0
; VGPRBlocks: 1
; NumSGPRsForWavesPerEU: 38
; NumVGPRsForWavesPerEU: 24
; NamedBarCnt: 0
; Occupancy: 16
; WaveLimiterHint : 1
; COMPUTE_PGM_RSRC2:SCRATCH_EN: 0
; COMPUTE_PGM_RSRC2:USER_SGPR: 2
; COMPUTE_PGM_RSRC2:TRAP_HANDLER: 0
; COMPUTE_PGM_RSRC2:TGID_X_EN: 1
; COMPUTE_PGM_RSRC2:TGID_Y_EN: 0
; COMPUTE_PGM_RSRC2:TGID_Z_EN: 0
; COMPUTE_PGM_RSRC2:TIDIG_COMP_CNT: 0
	.section	.text._ZN9rocsparseL24bsrsm_upper_large_kernelILj1024ELj16ELb0E21rocsparse_complex_numIdEEEviiPKiS4_PKT2_iPS5_iPiS4_S9_21rocsparse_index_base_20rocsparse_diag_type_20rocsparse_direction_,"axG",@progbits,_ZN9rocsparseL24bsrsm_upper_large_kernelILj1024ELj16ELb0E21rocsparse_complex_numIdEEEviiPKiS4_PKT2_iPS5_iPiS4_S9_21rocsparse_index_base_20rocsparse_diag_type_20rocsparse_direction_,comdat
	.globl	_ZN9rocsparseL24bsrsm_upper_large_kernelILj1024ELj16ELb0E21rocsparse_complex_numIdEEEviiPKiS4_PKT2_iPS5_iPiS4_S9_21rocsparse_index_base_20rocsparse_diag_type_20rocsparse_direction_ ; -- Begin function _ZN9rocsparseL24bsrsm_upper_large_kernelILj1024ELj16ELb0E21rocsparse_complex_numIdEEEviiPKiS4_PKT2_iPS5_iPiS4_S9_21rocsparse_index_base_20rocsparse_diag_type_20rocsparse_direction_
	.p2align	8
	.type	_ZN9rocsparseL24bsrsm_upper_large_kernelILj1024ELj16ELb0E21rocsparse_complex_numIdEEEviiPKiS4_PKT2_iPS5_iPiS4_S9_21rocsparse_index_base_20rocsparse_diag_type_20rocsparse_direction_,@function
_ZN9rocsparseL24bsrsm_upper_large_kernelILj1024ELj16ELb0E21rocsparse_complex_numIdEEEviiPKiS4_PKT2_iPS5_iPiS4_S9_21rocsparse_index_base_20rocsparse_diag_type_20rocsparse_direction_: ; @_ZN9rocsparseL24bsrsm_upper_large_kernelILj1024ELj16ELb0E21rocsparse_complex_numIdEEEviiPKiS4_PKT2_iPS5_iPiS4_S9_21rocsparse_index_base_20rocsparse_diag_type_20rocsparse_direction_
; %bb.0:
	s_clause 0x1
	s_load_b64 s[24:25], s[0:1], 0x0
	s_load_b128 s[8:11], s[0:1], 0x8
	s_bfe_u32 s4, ttmp6, 0x4000c
	s_and_b32 s3, ttmp6, 15
	s_add_co_i32 s4, s4, 1
	s_getreg_b32 s5, hwreg(HW_REG_IB_STS2, 6, 4)
	s_mul_i32 s4, ttmp9, s4
	v_dual_lshrrev_b32 v6, 6, v0 :: v_dual_bitop2_b32 v12, 63, v0 bitop3:0x40
	s_add_co_i32 s3, s3, s4
	s_wait_kmcnt 0x0
	s_cvt_f32_u32 s2, s24
	s_sub_co_i32 s6, 0, s24
	s_delay_alu instid0(SALU_CYCLE_2) | instskip(SKIP_1) | instid1(TRANS32_DEP_1)
	v_rcp_iflag_f32_e32 v1, s2
	v_nop
	v_readfirstlane_b32 s2, v1
	s_mul_f32 s2, s2, 0x4f7ffffe
	s_delay_alu instid0(SALU_CYCLE_3) | instskip(NEXT) | instid1(SALU_CYCLE_3)
	s_cvt_u32_f32 s2, s2
	s_mul_i32 s6, s6, s2
	s_delay_alu instid0(SALU_CYCLE_1) | instskip(NEXT) | instid1(SALU_CYCLE_1)
	s_mul_hi_u32 s6, s2, s6
	s_add_co_i32 s2, s2, s6
	s_cmp_eq_u32 s5, 0
	s_load_b128 s[4:7], s[0:1], 0x38
	s_cselect_b32 s3, ttmp9, s3
	s_delay_alu instid0(SALU_CYCLE_1) | instskip(NEXT) | instid1(SALU_CYCLE_1)
	s_mul_hi_u32 s2, s3, s2
	s_mul_i32 s12, s2, s24
	s_add_co_i32 s13, s2, 1
	s_sub_co_i32 s12, s3, s12
	s_delay_alu instid0(SALU_CYCLE_1)
	s_sub_co_i32 s14, s12, s24
	s_cmp_ge_u32 s12, s24
	s_cselect_b32 s2, s13, s2
	s_cselect_b32 s12, s14, s12
	s_add_co_i32 s13, s2, 1
	s_cmp_ge_u32 s12, s24
	s_cselect_b32 s19, s13, s2
	s_delay_alu instid0(SALU_CYCLE_1) | instskip(SKIP_4) | instid1(SALU_CYCLE_1)
	s_mul_i32 s15, s19, s24
	s_lshl_b32 s19, s19, 4
	s_sub_co_i32 s2, s3, s15
	v_or_b32_e32 v1, s19, v6
	s_ashr_i32 s3, s2, 31
	s_lshl_b64 s[12:13], s[2:3], 2
	s_load_b64 s[2:3], s[0:1], 0x48
	s_wait_kmcnt 0x0
	s_add_nc_u64 s[6:7], s[6:7], s[12:13]
	s_load_b96 s[12:14], s[0:1], 0x50
	v_cmp_gt_i32_e32 vcc_lo, s25, v1
	s_load_b32 s6, s[6:7], 0x0
	s_wait_kmcnt 0x0
	s_ashr_i32 s7, s6, 31
	s_delay_alu instid0(SALU_CYCLE_1) | instskip(NEXT) | instid1(SALU_CYCLE_1)
	s_lshl_b64 s[16:17], s[6:7], 2
	s_add_nc_u64 s[8:9], s[8:9], s[16:17]
	s_load_b64 s[26:27], s[8:9], 0x0
	s_clause 0x1
	s_load_b96 s[16:18], s[0:1], 0x18
	s_load_b96 s[20:22], s[0:1], 0x28
	s_wait_xcnt 0x0
	s_not_b32 s0, s12
	s_wait_kmcnt 0x0
	s_add_co_i32 s23, s27, s0
	v_cmp_eq_u32_e64 s0, 0, v0
	s_sub_co_i32 s26, s26, s12
	s_mul_i32 s7, s6, s18
	s_cmp_lt_i32 s23, s26
	s_cbranch_scc1 .LBB62_18
; %bb.1:
	v_mad_u32 v2, s18, s23, v12
	v_cmp_gt_i32_e64 s1, s18, v12
	v_dual_add_nc_u32 v7, s19, v6 :: v_dual_mov_b32 v9, 0
	s_cmp_lg_u32 s14, 0
	s_mul_i32 s28, s22, s18
	s_cselect_b32 s27, -1, 0
	s_and_b32 s1, vcc_lo, s1
	s_mul_i32 s29, s18, s18
	s_lshl_b32 s30, s18, 6
	v_mul_lo_u32 v8, s18, v2
	s_branch .LBB62_3
.LBB62_2:                               ;   in Loop: Header=BB62_3 Depth=1
                                        ; implicit-def: $vgpr8
	s_cbranch_execnz .LBB62_19
.LBB62_3:                               ; =>This Loop Header: Depth=1
                                        ;     Child Loop BB62_7 Depth 2
                                        ;     Child Loop BB62_11 Depth 2
                                        ;       Child Loop BB62_13 Depth 3
	s_wait_xcnt 0x0
	v_mov_b32_e32 v2, s23
	global_load_b32 v2, v2, s[10:11] scale_offset
	s_wait_loadcnt 0x0
	v_readfirstlane_b32 s8, v2
	s_sub_co_i32 s31, s8, s12
	s_delay_alu instid0(SALU_CYCLE_1)
	s_cmp_le_i32 s31, s6
	s_cbranch_scc1 .LBB62_2
; %bb.4:                                ;   in Loop: Header=BB62_3 Depth=1
	s_wait_xcnt 0x0
	s_and_saveexec_b32 s33, s0
	s_cbranch_execz .LBB62_8
; %bb.5:                                ;   in Loop: Header=BB62_3 Depth=1
	s_add_co_i32 s8, s31, s15
	s_delay_alu instid0(SALU_CYCLE_1)
	v_mov_b32_e32 v2, s8
	global_load_b32 v2, v2, s[4:5] scale_offset scope:SCOPE_DEV
	s_wait_loadcnt 0x0
	v_cmp_ne_u32_e32 vcc_lo, 0, v2
	s_cbranch_vccnz .LBB62_8
; %bb.6:                                ;   in Loop: Header=BB62_3 Depth=1
	s_ashr_i32 s9, s8, 31
	s_delay_alu instid0(SALU_CYCLE_1) | instskip(NEXT) | instid1(SALU_CYCLE_1)
	s_lshl_b64 s[8:9], s[8:9], 2
	s_add_nc_u64 s[8:9], s[4:5], s[8:9]
.LBB62_7:                               ;   Parent Loop BB62_3 Depth=1
                                        ; =>  This Inner Loop Header: Depth=2
	global_load_b32 v2, v9, s[8:9] scope:SCOPE_DEV
	s_wait_loadcnt 0x0
	v_cmp_eq_u32_e32 vcc_lo, 0, v2
	s_cbranch_vccnz .LBB62_7
.LBB62_8:                               ;   in Loop: Header=BB62_3 Depth=1
	s_wait_xcnt 0x0
	s_or_b32 exec_lo, exec_lo, s33
	global_wb scope:SCOPE_DEV
	s_wait_storecnt 0x0
	global_inv scope:SCOPE_DEV
	s_wait_loadcnt 0x0
	s_barrier_signal -1
	s_barrier_wait -1
	s_and_saveexec_b32 s8, s1
	s_cbranch_execz .LBB62_17
; %bb.9:                                ;   in Loop: Header=BB62_3 Depth=1
	v_mad_u32 v10, s28, s31, v7
	v_dual_mov_b32 v11, v8 :: v_dual_mov_b32 v13, v12
	s_mul_i32 s9, s23, s18
	s_mov_b32 s33, 0
	s_branch .LBB62_11
.LBB62_10:                              ;   in Loop: Header=BB62_11 Depth=2
	v_dual_add_nc_u32 v14, s7, v13 :: v_dual_add_nc_u32 v13, 64, v13
	v_add_nc_u32_e32 v11, s30, v11
	s_delay_alu instid0(VALU_DEP_2) | instskip(NEXT) | instid1(VALU_DEP_3)
	v_mad_u32 v18, v14, s22, v1
	v_cmp_le_i32_e32 vcc_lo, s18, v13
	s_or_b32 s33, vcc_lo, s33
	global_load_b128 v[14:17], v18, s[20:21] scale_offset
	s_wait_loadcnt 0x0
	v_add_f64_e64 v[14:15], v[14:15], -v[4:5]
	v_add_f64_e64 v[16:17], v[16:17], -v[2:3]
	global_store_b128 v18, v[14:17], s[20:21] scale_offset
	s_wait_xcnt 0x0
	s_and_not1_b32 exec_lo, exec_lo, s33
	s_cbranch_execz .LBB62_17
.LBB62_11:                              ;   Parent Loop BB62_3 Depth=1
                                        ; =>  This Loop Header: Depth=2
                                        ;       Child Loop BB62_13 Depth 3
	v_mov_b64_e32 v[2:3], 0
	v_mov_b64_e32 v[4:5], 0
	s_delay_alu instid0(VALU_DEP_4)
	v_mov_b32_e32 v14, v10
	s_mov_b32 s34, 0
	s_branch .LBB62_13
.LBB62_12:                              ;   in Loop: Header=BB62_13 Depth=3
	global_load_b128 v[16:19], v15, s[16:17] scale_offset
	global_load_b128 v[20:23], v14, s[20:21] scale_offset
	s_wait_xcnt 0x0
	v_add_nc_u32_e32 v14, s22, v14
	s_add_co_i32 s34, s34, 1
	s_delay_alu instid0(SALU_CYCLE_1) | instskip(SKIP_3) | instid1(VALU_DEP_2)
	s_cmp_eq_u32 s18, s34
	s_wait_loadcnt 0x0
	v_fmac_f64_e32 v[4:5], v[16:17], v[20:21]
	v_fmac_f64_e32 v[2:3], v[18:19], v[20:21]
	v_fma_f64 v[4:5], -v[18:19], v[22:23], v[4:5]
	s_delay_alu instid0(VALU_DEP_2)
	v_fmac_f64_e32 v[2:3], v[16:17], v[22:23]
	s_cbranch_scc1 .LBB62_10
.LBB62_13:                              ;   Parent Loop BB62_3 Depth=1
                                        ;     Parent Loop BB62_11 Depth=2
                                        ; =>    This Inner Loop Header: Depth=3
	s_and_b32 vcc_lo, exec_lo, s27
	s_cbranch_vccz .LBB62_15
; %bb.14:                               ;   in Loop: Header=BB62_13 Depth=3
	s_add_co_i32 s35, s34, s9
	s_delay_alu instid0(SALU_CYCLE_1)
	v_mad_u32 v15, s35, s18, v13
	s_cbranch_execnz .LBB62_12
	s_branch .LBB62_16
.LBB62_15:                              ;   in Loop: Header=BB62_13 Depth=3
                                        ; implicit-def: $vgpr15
.LBB62_16:                              ;   in Loop: Header=BB62_13 Depth=3
	v_add_nc_u32_e32 v15, s34, v11
	s_branch .LBB62_12
.LBB62_17:                              ;   in Loop: Header=BB62_3 Depth=1
	s_or_b32 exec_lo, exec_lo, s8
	s_add_co_i32 s9, s23, -1
	s_cmp_le_i32 s23, s26
	v_subrev_nc_u32_e32 v8, s29, v8
	s_cselect_b32 s8, -1, 0
	s_mov_b32 s23, s9
	s_and_b32 vcc_lo, exec_lo, s8
	s_cbranch_vccz .LBB62_3
	s_branch .LBB62_19
.LBB62_18:
	s_mov_b32 s31, s24
.LBB62_19:
	s_cmp_lt_i32 s6, s24
	v_cmp_gt_i32_e32 vcc_lo, s25, v1
	s_cselect_b32 s1, -1, 0
	s_cmp_eq_u32 s6, s31
	s_cselect_b32 s0, -1, 0
	s_delay_alu instid0(SALU_CYCLE_1) | instskip(NEXT) | instid1(SALU_CYCLE_1)
	s_and_b32 s0, s1, s0
	s_and_b32 s8, s0, vcc_lo
	s_cmp_gt_i32 s18, 0
	s_mov_b32 s0, 0
	s_cselect_b32 s9, -1, 0
	s_delay_alu instid0(SALU_CYCLE_1)
	s_and_b32 s9, s8, s9
	s_wait_xcnt 0x0
	s_and_saveexec_b32 s8, s9
	s_cbranch_execz .LBB62_36
; %bb.20:
	v_add_nc_u32_e32 v2, s7, v12
	s_cmp_eq_u32 s13, 0
	s_mov_b32 s13, 0
	s_cselect_b32 s9, -1, 0
	s_cmp_lg_u32 s14, 0
	v_mul_lo_u32 v2, s22, v2
	s_cselect_b32 s10, -1, 0
	s_add_co_i32 s0, s23, 1
	s_mul_i32 s11, s23, s18
	s_mul_i32 s0, s18, s0
	s_lshl_b32 s14, s22, 6
	s_add_co_i32 s0, s0, -1
	s_mov_b32 s23, s18
	s_delay_alu instid0(VALU_DEP_1)
	v_add3_u32 v13, v6, v2, s19
	s_mul_i32 s19, s18, s0
	s_and_not1_b32 vcc_lo, exec_lo, s9
	s_add_co_i32 s24, s23, -1
	s_cbranch_vccz .LBB62_22
.LBB62_21:
	v_mov_b64_e32 v[8:9], 0
	v_mov_b64_e32 v[6:7], 1.0
	s_branch .LBB62_23
.LBB62_22:
	s_add_co_i32 s0, s24, s11
	s_delay_alu instid0(SALU_CYCLE_1) | instskip(NEXT) | instid1(SALU_CYCLE_1)
	s_mul_i32 s0, s0, s18
	s_add_co_i32 s0, s0, s24
	s_wait_loadcnt 0x0
	v_mov_b32_e32 v2, s0
	global_load_b128 v[6:9], v2, s[16:17] scale_offset
.LBB62_23:
	s_add_co_i32 s0, s24, s7
	s_wait_loadcnt 0x0
	s_delay_alu instid0(VALU_DEP_1) | instskip(SKIP_4) | instid1(SALU_CYCLE_1)
	v_cmp_eq_f64_e32 vcc_lo, 0, v[6:7]
	v_mad_u32 v10, s0, s22, v1
	v_cmp_eq_f64_e64 s0, 0, v[8:9]
	global_load_b128 v[2:5], v10, s[20:21] scale_offset
	s_and_b32 s0, vcc_lo, s0
	s_and_b32 vcc_lo, exec_lo, s0
	s_cbranch_vccnz .LBB62_25
; %bb.24:
	v_dual_mul_f64 v[14:15], v[8:9], v[8:9] :: v_dual_ashrrev_i32 v11, 31, v10
	s_wait_xcnt 0x0
	s_delay_alu instid0(VALU_DEP_1) | instskip(NEXT) | instid1(VALU_DEP_2)
	v_lshl_add_u64 v[10:11], v[10:11], 4, s[20:21]
	v_fmac_f64_e32 v[14:15], v[6:7], v[6:7]
	s_delay_alu instid0(VALU_DEP_1) | instskip(SKIP_1) | instid1(VALU_DEP_2)
	v_div_scale_f64 v[16:17], null, v[14:15], v[14:15], 1.0
	v_div_scale_f64 v[22:23], vcc_lo, 1.0, v[14:15], 1.0
	v_rcp_f64_e32 v[18:19], v[16:17]
	v_nop
	s_delay_alu instid0(TRANS32_DEP_1) | instskip(NEXT) | instid1(VALU_DEP_1)
	v_fma_f64 v[20:21], -v[16:17], v[18:19], 1.0
	v_fmac_f64_e32 v[18:19], v[18:19], v[20:21]
	s_delay_alu instid0(VALU_DEP_1) | instskip(NEXT) | instid1(VALU_DEP_1)
	v_fma_f64 v[20:21], -v[16:17], v[18:19], 1.0
	v_fmac_f64_e32 v[18:19], v[18:19], v[20:21]
	s_delay_alu instid0(VALU_DEP_1) | instskip(NEXT) | instid1(VALU_DEP_1)
	v_mul_f64_e32 v[20:21], v[22:23], v[18:19]
	v_fma_f64 v[16:17], -v[16:17], v[20:21], v[22:23]
	s_wait_loadcnt 0x0
	v_mul_f64_e64 v[22:23], v[8:9], -v[2:3]
	s_delay_alu instid0(VALU_DEP_2) | instskip(SKIP_1) | instid1(VALU_DEP_3)
	v_div_fmas_f64 v[16:17], v[16:17], v[18:19], v[20:21]
	v_mul_f64_e32 v[18:19], v[8:9], v[4:5]
	v_fmac_f64_e32 v[22:23], v[4:5], v[6:7]
	s_delay_alu instid0(VALU_DEP_3) | instskip(NEXT) | instid1(VALU_DEP_3)
	v_div_fixup_f64 v[4:5], v[16:17], v[14:15], 1.0
	v_fmac_f64_e32 v[18:19], v[2:3], v[6:7]
	s_delay_alu instid0(VALU_DEP_2) | instskip(NEXT) | instid1(VALU_DEP_2)
	v_mul_f64_e32 v[8:9], v[4:5], v[22:23]
	v_mul_f64_e32 v[6:7], v[4:5], v[18:19]
	s_delay_alu instid0(VALU_DEP_2) | instskip(NEXT) | instid1(VALU_DEP_2)
	v_mov_b64_e32 v[4:5], v[8:9]
	v_mov_b64_e32 v[2:3], v[6:7]
	global_store_b128 v[10:11], v[6:9], off
	s_mov_b32 s0, exec_lo
	s_wait_xcnt 0x0
	v_cmpx_gt_i32_e64 s24, v12
	s_cbranch_execnz .LBB62_26
	s_branch .LBB62_32
.LBB62_25:
	s_mov_b32 s13, -1
	s_mov_b32 s0, exec_lo
	s_wait_xcnt 0x0
	v_cmpx_gt_i32_e64 s24, v12
	s_cbranch_execz .LBB62_32
.LBB62_26:
	v_dual_mov_b32 v6, v13 :: v_dual_mov_b32 v7, v12
	s_mov_b32 s25, 0
	s_branch .LBB62_28
.LBB62_27:                              ;   in Loop: Header=BB62_28 Depth=1
	global_load_b128 v[14:17], v8, s[16:17] scale_offset
	global_load_b128 v[18:21], v6, s[20:21] scale_offset
	v_add_nc_u32_e32 v7, 64, v7
	s_delay_alu instid0(VALU_DEP_1)
	v_cmp_le_i32_e32 vcc_lo, s24, v7
	s_or_b32 s25, vcc_lo, s25
	s_wait_loadcnt 0x1
	s_wait_xcnt 0x1
	v_mul_f64_e64 v[8:9], v[16:17], -v[4:5]
	v_mul_f64_e32 v[10:11], v[2:3], v[16:17]
	s_delay_alu instid0(VALU_DEP_2) | instskip(NEXT) | instid1(VALU_DEP_2)
	v_fmac_f64_e32 v[8:9], v[2:3], v[14:15]
	v_fmac_f64_e32 v[10:11], v[4:5], v[14:15]
	s_wait_loadcnt 0x0
	s_delay_alu instid0(VALU_DEP_2) | instskip(NEXT) | instid1(VALU_DEP_2)
	v_add_f64_e64 v[8:9], v[18:19], -v[8:9]
	v_add_f64_e64 v[10:11], v[20:21], -v[10:11]
	global_store_b128 v6, v[8:11], s[20:21] scale_offset
	s_wait_xcnt 0x0
	v_add_nc_u32_e32 v6, s14, v6
	s_and_not1_b32 exec_lo, exec_lo, s25
	s_cbranch_execz .LBB62_32
.LBB62_28:                              ; =>This Inner Loop Header: Depth=1
	s_and_b32 vcc_lo, exec_lo, s10
	s_cbranch_vccz .LBB62_30
; %bb.29:                               ;   in Loop: Header=BB62_28 Depth=1
	v_add_nc_u32_e32 v8, s19, v7
	s_cbranch_execnz .LBB62_27
	s_branch .LBB62_31
.LBB62_30:                              ;   in Loop: Header=BB62_28 Depth=1
                                        ; implicit-def: $vgpr8
.LBB62_31:                              ;   in Loop: Header=BB62_28 Depth=1
	v_add_nc_u32_e32 v8, s11, v7
	s_delay_alu instid0(VALU_DEP_1)
	v_mad_u32 v8, v8, s18, s24
	s_branch .LBB62_27
.LBB62_32:
	s_or_b32 exec_lo, exec_lo, s0
; %bb.33:
	s_sub_co_i32 s19, s19, s18
	s_cmp_lt_i32 s23, 2
	s_cbranch_scc1 .LBB62_35
; %bb.34:
	s_mov_b32 s23, s24
	s_and_not1_b32 vcc_lo, exec_lo, s9
	s_add_co_i32 s24, s23, -1
	s_cbranch_vccnz .LBB62_21
	s_branch .LBB62_22
.LBB62_35:
	s_and_b32 s0, s13, exec_lo
.LBB62_36:
	s_or_b32 exec_lo, exec_lo, s8
	v_cmp_eq_u32_e32 vcc_lo, 0, v0
	global_wb scope:SCOPE_DEV
	s_wait_loadcnt 0x0
	s_wait_storecnt 0x0
	global_inv scope:SCOPE_DEV
	s_wait_loadcnt 0x0
	s_barrier_signal -1
	s_barrier_wait -1
	s_and_b32 s1, vcc_lo, s1
	s_delay_alu instid0(SALU_CYCLE_1)
	s_and_saveexec_b32 s7, s1
	s_cbranch_execz .LBB62_40
; %bb.37:
	s_add_co_i32 s1, s6, s15
	s_delay_alu instid0(SALU_CYCLE_1)
	v_dual_mov_b32 v0, 1 :: v_dual_mov_b32 v1, s1
	global_store_b32 v1, v0, s[4:5] scale_offset scope:SCOPE_DEV
	s_wait_xcnt 0x0
	s_and_b32 exec_lo, exec_lo, s0
	s_cbranch_execz .LBB62_40
; %bb.38:
	v_mbcnt_lo_u32_b32 v0, exec_lo, 0
	s_delay_alu instid0(VALU_DEP_1)
	v_cmp_eq_u32_e32 vcc_lo, 0, v0
	s_and_b32 exec_lo, exec_lo, vcc_lo
	s_cbranch_execz .LBB62_40
; %bb.39:
	s_add_co_i32 s0, s6, s12
	s_delay_alu instid0(SALU_CYCLE_1)
	v_dual_mov_b32 v0, 0 :: v_dual_mov_b32 v1, s0
	global_atomic_min_i32 v0, v1, s[2:3] scope:SCOPE_DEV
.LBB62_40:
	s_endpgm
	.section	.rodata,"a",@progbits
	.p2align	6, 0x0
	.amdhsa_kernel _ZN9rocsparseL24bsrsm_upper_large_kernelILj1024ELj16ELb0E21rocsparse_complex_numIdEEEviiPKiS4_PKT2_iPS5_iPiS4_S9_21rocsparse_index_base_20rocsparse_diag_type_20rocsparse_direction_
		.amdhsa_group_segment_fixed_size 0
		.amdhsa_private_segment_fixed_size 0
		.amdhsa_kernarg_size 92
		.amdhsa_user_sgpr_count 2
		.amdhsa_user_sgpr_dispatch_ptr 0
		.amdhsa_user_sgpr_queue_ptr 0
		.amdhsa_user_sgpr_kernarg_segment_ptr 1
		.amdhsa_user_sgpr_dispatch_id 0
		.amdhsa_user_sgpr_kernarg_preload_length 0
		.amdhsa_user_sgpr_kernarg_preload_offset 0
		.amdhsa_user_sgpr_private_segment_size 0
		.amdhsa_wavefront_size32 1
		.amdhsa_uses_dynamic_stack 0
		.amdhsa_enable_private_segment 0
		.amdhsa_system_sgpr_workgroup_id_x 1
		.amdhsa_system_sgpr_workgroup_id_y 0
		.amdhsa_system_sgpr_workgroup_id_z 0
		.amdhsa_system_sgpr_workgroup_info 0
		.amdhsa_system_vgpr_workitem_id 0
		.amdhsa_next_free_vgpr 24
		.amdhsa_next_free_sgpr 36
		.amdhsa_named_barrier_count 0
		.amdhsa_reserve_vcc 1
		.amdhsa_float_round_mode_32 0
		.amdhsa_float_round_mode_16_64 0
		.amdhsa_float_denorm_mode_32 3
		.amdhsa_float_denorm_mode_16_64 3
		.amdhsa_fp16_overflow 0
		.amdhsa_memory_ordered 1
		.amdhsa_forward_progress 1
		.amdhsa_inst_pref_size 14
		.amdhsa_round_robin_scheduling 0
		.amdhsa_exception_fp_ieee_invalid_op 0
		.amdhsa_exception_fp_denorm_src 0
		.amdhsa_exception_fp_ieee_div_zero 0
		.amdhsa_exception_fp_ieee_overflow 0
		.amdhsa_exception_fp_ieee_underflow 0
		.amdhsa_exception_fp_ieee_inexact 0
		.amdhsa_exception_int_div_zero 0
	.end_amdhsa_kernel
	.section	.text._ZN9rocsparseL24bsrsm_upper_large_kernelILj1024ELj16ELb0E21rocsparse_complex_numIdEEEviiPKiS4_PKT2_iPS5_iPiS4_S9_21rocsparse_index_base_20rocsparse_diag_type_20rocsparse_direction_,"axG",@progbits,_ZN9rocsparseL24bsrsm_upper_large_kernelILj1024ELj16ELb0E21rocsparse_complex_numIdEEEviiPKiS4_PKT2_iPS5_iPiS4_S9_21rocsparse_index_base_20rocsparse_diag_type_20rocsparse_direction_,comdat
.Lfunc_end62:
	.size	_ZN9rocsparseL24bsrsm_upper_large_kernelILj1024ELj16ELb0E21rocsparse_complex_numIdEEEviiPKiS4_PKT2_iPS5_iPiS4_S9_21rocsparse_index_base_20rocsparse_diag_type_20rocsparse_direction_, .Lfunc_end62-_ZN9rocsparseL24bsrsm_upper_large_kernelILj1024ELj16ELb0E21rocsparse_complex_numIdEEEviiPKiS4_PKT2_iPS5_iPiS4_S9_21rocsparse_index_base_20rocsparse_diag_type_20rocsparse_direction_
                                        ; -- End function
	.set _ZN9rocsparseL24bsrsm_upper_large_kernelILj1024ELj16ELb0E21rocsparse_complex_numIdEEEviiPKiS4_PKT2_iPS5_iPiS4_S9_21rocsparse_index_base_20rocsparse_diag_type_20rocsparse_direction_.num_vgpr, 24
	.set _ZN9rocsparseL24bsrsm_upper_large_kernelILj1024ELj16ELb0E21rocsparse_complex_numIdEEEviiPKiS4_PKT2_iPS5_iPiS4_S9_21rocsparse_index_base_20rocsparse_diag_type_20rocsparse_direction_.num_agpr, 0
	.set _ZN9rocsparseL24bsrsm_upper_large_kernelILj1024ELj16ELb0E21rocsparse_complex_numIdEEEviiPKiS4_PKT2_iPS5_iPiS4_S9_21rocsparse_index_base_20rocsparse_diag_type_20rocsparse_direction_.numbered_sgpr, 36
	.set _ZN9rocsparseL24bsrsm_upper_large_kernelILj1024ELj16ELb0E21rocsparse_complex_numIdEEEviiPKiS4_PKT2_iPS5_iPiS4_S9_21rocsparse_index_base_20rocsparse_diag_type_20rocsparse_direction_.num_named_barrier, 0
	.set _ZN9rocsparseL24bsrsm_upper_large_kernelILj1024ELj16ELb0E21rocsparse_complex_numIdEEEviiPKiS4_PKT2_iPS5_iPiS4_S9_21rocsparse_index_base_20rocsparse_diag_type_20rocsparse_direction_.private_seg_size, 0
	.set _ZN9rocsparseL24bsrsm_upper_large_kernelILj1024ELj16ELb0E21rocsparse_complex_numIdEEEviiPKiS4_PKT2_iPS5_iPiS4_S9_21rocsparse_index_base_20rocsparse_diag_type_20rocsparse_direction_.uses_vcc, 1
	.set _ZN9rocsparseL24bsrsm_upper_large_kernelILj1024ELj16ELb0E21rocsparse_complex_numIdEEEviiPKiS4_PKT2_iPS5_iPiS4_S9_21rocsparse_index_base_20rocsparse_diag_type_20rocsparse_direction_.uses_flat_scratch, 0
	.set _ZN9rocsparseL24bsrsm_upper_large_kernelILj1024ELj16ELb0E21rocsparse_complex_numIdEEEviiPKiS4_PKT2_iPS5_iPiS4_S9_21rocsparse_index_base_20rocsparse_diag_type_20rocsparse_direction_.has_dyn_sized_stack, 0
	.set _ZN9rocsparseL24bsrsm_upper_large_kernelILj1024ELj16ELb0E21rocsparse_complex_numIdEEEviiPKiS4_PKT2_iPS5_iPiS4_S9_21rocsparse_index_base_20rocsparse_diag_type_20rocsparse_direction_.has_recursion, 0
	.set _ZN9rocsparseL24bsrsm_upper_large_kernelILj1024ELj16ELb0E21rocsparse_complex_numIdEEEviiPKiS4_PKT2_iPS5_iPiS4_S9_21rocsparse_index_base_20rocsparse_diag_type_20rocsparse_direction_.has_indirect_call, 0
	.section	.AMDGPU.csdata,"",@progbits
; Kernel info:
; codeLenInByte = 1776
; TotalNumSgprs: 38
; NumVgprs: 24
; ScratchSize: 0
; MemoryBound: 0
; FloatMode: 240
; IeeeMode: 1
; LDSByteSize: 0 bytes/workgroup (compile time only)
; SGPRBlocks: 0
; VGPRBlocks: 1
; NumSGPRsForWavesPerEU: 38
; NumVGPRsForWavesPerEU: 24
; NamedBarCnt: 0
; Occupancy: 16
; WaveLimiterHint : 1
; COMPUTE_PGM_RSRC2:SCRATCH_EN: 0
; COMPUTE_PGM_RSRC2:USER_SGPR: 2
; COMPUTE_PGM_RSRC2:TRAP_HANDLER: 0
; COMPUTE_PGM_RSRC2:TGID_X_EN: 1
; COMPUTE_PGM_RSRC2:TGID_Y_EN: 0
; COMPUTE_PGM_RSRC2:TGID_Z_EN: 0
; COMPUTE_PGM_RSRC2:TIDIG_COMP_CNT: 0
	.section	.text._ZN9rocsparseL24bsrsm_lower_large_kernelILj1024ELj16ELb0E21rocsparse_complex_numIdEEEviiPKiS4_PKT2_iPS5_iPiS4_S9_21rocsparse_index_base_20rocsparse_diag_type_20rocsparse_direction_,"axG",@progbits,_ZN9rocsparseL24bsrsm_lower_large_kernelILj1024ELj16ELb0E21rocsparse_complex_numIdEEEviiPKiS4_PKT2_iPS5_iPiS4_S9_21rocsparse_index_base_20rocsparse_diag_type_20rocsparse_direction_,comdat
	.globl	_ZN9rocsparseL24bsrsm_lower_large_kernelILj1024ELj16ELb0E21rocsparse_complex_numIdEEEviiPKiS4_PKT2_iPS5_iPiS4_S9_21rocsparse_index_base_20rocsparse_diag_type_20rocsparse_direction_ ; -- Begin function _ZN9rocsparseL24bsrsm_lower_large_kernelILj1024ELj16ELb0E21rocsparse_complex_numIdEEEviiPKiS4_PKT2_iPS5_iPiS4_S9_21rocsparse_index_base_20rocsparse_diag_type_20rocsparse_direction_
	.p2align	8
	.type	_ZN9rocsparseL24bsrsm_lower_large_kernelILj1024ELj16ELb0E21rocsparse_complex_numIdEEEviiPKiS4_PKT2_iPS5_iPiS4_S9_21rocsparse_index_base_20rocsparse_diag_type_20rocsparse_direction_,@function
_ZN9rocsparseL24bsrsm_lower_large_kernelILj1024ELj16ELb0E21rocsparse_complex_numIdEEEviiPKiS4_PKT2_iPS5_iPiS4_S9_21rocsparse_index_base_20rocsparse_diag_type_20rocsparse_direction_: ; @_ZN9rocsparseL24bsrsm_lower_large_kernelILj1024ELj16ELb0E21rocsparse_complex_numIdEEEviiPKiS4_PKT2_iPS5_iPiS4_S9_21rocsparse_index_base_20rocsparse_diag_type_20rocsparse_direction_
; %bb.0:
	s_clause 0x1
	s_load_b64 s[24:25], s[0:1], 0x0
	s_load_b128 s[8:11], s[0:1], 0x8
	s_bfe_u32 s4, ttmp6, 0x4000c
	s_and_b32 s3, ttmp6, 15
	s_add_co_i32 s4, s4, 1
	s_getreg_b32 s5, hwreg(HW_REG_IB_STS2, 6, 4)
	s_mul_i32 s4, ttmp9, s4
	v_dual_lshrrev_b32 v6, 6, v0 :: v_dual_bitop2_b32 v7, 63, v0 bitop3:0x40
	s_add_co_i32 s3, s3, s4
	s_wait_kmcnt 0x0
	s_cvt_f32_u32 s2, s24
	s_sub_co_i32 s6, 0, s24
	s_delay_alu instid0(SALU_CYCLE_2) | instskip(SKIP_1) | instid1(TRANS32_DEP_1)
	v_rcp_iflag_f32_e32 v1, s2
	v_nop
	v_readfirstlane_b32 s2, v1
	s_mul_f32 s2, s2, 0x4f7ffffe
	s_delay_alu instid0(SALU_CYCLE_3) | instskip(NEXT) | instid1(SALU_CYCLE_3)
	s_cvt_u32_f32 s2, s2
	s_mul_i32 s6, s6, s2
	s_delay_alu instid0(SALU_CYCLE_1) | instskip(NEXT) | instid1(SALU_CYCLE_1)
	s_mul_hi_u32 s6, s2, s6
	s_add_co_i32 s2, s2, s6
	s_cmp_eq_u32 s5, 0
	s_load_b128 s[4:7], s[0:1], 0x38
	s_cselect_b32 s3, ttmp9, s3
	s_delay_alu instid0(SALU_CYCLE_1) | instskip(NEXT) | instid1(SALU_CYCLE_1)
	s_mul_hi_u32 s2, s3, s2
	s_mul_i32 s12, s2, s24
	s_add_co_i32 s13, s2, 1
	s_sub_co_i32 s12, s3, s12
	s_delay_alu instid0(SALU_CYCLE_1)
	s_sub_co_i32 s14, s12, s24
	s_cmp_ge_u32 s12, s24
	s_cselect_b32 s2, s13, s2
	s_cselect_b32 s12, s14, s12
	s_add_co_i32 s13, s2, 1
	s_cmp_ge_u32 s12, s24
	s_cselect_b32 s19, s13, s2
	s_delay_alu instid0(SALU_CYCLE_1) | instskip(SKIP_4) | instid1(SALU_CYCLE_1)
	s_mul_i32 s15, s19, s24
	s_lshl_b32 s19, s19, 4
	s_sub_co_i32 s2, s3, s15
	v_or_b32_e32 v1, s19, v6
	s_ashr_i32 s3, s2, 31
	s_lshl_b64 s[12:13], s[2:3], 2
	s_load_b64 s[2:3], s[0:1], 0x48
	s_wait_kmcnt 0x0
	s_add_nc_u64 s[6:7], s[6:7], s[12:13]
	v_cmp_gt_i32_e32 vcc_lo, s25, v1
	s_load_b32 s6, s[6:7], 0x0
	s_wait_kmcnt 0x0
	s_ashr_i32 s7, s6, 31
	s_delay_alu instid0(SALU_CYCLE_1) | instskip(NEXT) | instid1(SALU_CYCLE_1)
	s_lshl_b64 s[12:13], s[6:7], 2
	s_add_nc_u64 s[26:27], s[8:9], s[12:13]
	s_load_b96 s[12:14], s[0:1], 0x50
	s_load_b64 s[8:9], s[26:27], 0x0
	s_clause 0x1
	s_load_b96 s[16:18], s[0:1], 0x18
	s_load_b96 s[20:22], s[0:1], 0x28
	s_wait_xcnt 0x0
	v_cmp_eq_u32_e64 s0, 0, v0
	s_wait_kmcnt 0x0
	s_sub_co_i32 s23, s8, s12
	s_cmp_ge_i32 s8, s9
	s_mul_i32 s7, s6, s18
	s_mul_i32 s26, s18, s18
	s_cbranch_scc1 .LBB63_18
; %bb.1:
	v_mad_u32 v2, s18, s23, v7
	v_cmp_gt_i32_e64 s1, s18, v7
	s_sub_co_i32 s27, s9, s12
	v_dual_mov_b32 v10, 0 :: v_dual_add_nc_u32 v9, s19, v6
	s_cmp_lg_u32 s14, 0
	s_mul_i32 s29, s22, s18
	s_cselect_b32 s28, -1, 0
	s_and_b32 s1, vcc_lo, s1
	s_lshl_b32 s30, s18, 6
	v_mul_lo_u32 v8, s18, v2
	s_branch .LBB63_3
.LBB63_2:                               ;   in Loop: Header=BB63_3 Depth=1
                                        ; implicit-def: $vgpr8
	s_and_b32 vcc_lo, exec_lo, s8
	s_cbranch_vccnz .LBB63_19
.LBB63_3:                               ; =>This Loop Header: Depth=1
                                        ;     Child Loop BB63_7 Depth 2
                                        ;     Child Loop BB63_11 Depth 2
                                        ;       Child Loop BB63_13 Depth 3
	s_wait_xcnt 0x0
	v_mov_b32_e32 v2, s23
	global_load_b32 v2, v2, s[10:11] scale_offset
	s_wait_loadcnt 0x0
	v_readfirstlane_b32 s8, v2
	s_sub_co_i32 s31, s8, s12
	s_mov_b32 s8, -1
	s_cmp_ge_i32 s31, s6
	s_cbranch_scc1 .LBB63_2
; %bb.4:                                ;   in Loop: Header=BB63_3 Depth=1
	s_wait_xcnt 0x0
	s_and_saveexec_b32 s33, s0
	s_cbranch_execz .LBB63_8
; %bb.5:                                ;   in Loop: Header=BB63_3 Depth=1
	s_add_co_i32 s8, s31, s15
	s_delay_alu instid0(SALU_CYCLE_1)
	v_mov_b32_e32 v2, s8
	global_load_b32 v2, v2, s[4:5] scale_offset scope:SCOPE_DEV
	s_wait_loadcnt 0x0
	v_cmp_ne_u32_e32 vcc_lo, 0, v2
	s_cbranch_vccnz .LBB63_8
; %bb.6:                                ;   in Loop: Header=BB63_3 Depth=1
	s_ashr_i32 s9, s8, 31
	s_delay_alu instid0(SALU_CYCLE_1) | instskip(NEXT) | instid1(SALU_CYCLE_1)
	s_lshl_b64 s[8:9], s[8:9], 2
	s_add_nc_u64 s[8:9], s[4:5], s[8:9]
.LBB63_7:                               ;   Parent Loop BB63_3 Depth=1
                                        ; =>  This Inner Loop Header: Depth=2
	global_load_b32 v2, v10, s[8:9] scope:SCOPE_DEV
	s_wait_loadcnt 0x0
	v_cmp_eq_u32_e32 vcc_lo, 0, v2
	s_cbranch_vccnz .LBB63_7
.LBB63_8:                               ;   in Loop: Header=BB63_3 Depth=1
	s_wait_xcnt 0x0
	s_or_b32 exec_lo, exec_lo, s33
	global_wb scope:SCOPE_DEV
	s_wait_storecnt 0x0
	global_inv scope:SCOPE_DEV
	s_wait_loadcnt 0x0
	s_barrier_signal -1
	s_barrier_wait -1
	s_and_saveexec_b32 s8, s1
	s_cbranch_execz .LBB63_17
; %bb.9:                                ;   in Loop: Header=BB63_3 Depth=1
	v_mad_u32 v11, s29, s31, v9
	v_dual_mov_b32 v12, v8 :: v_dual_mov_b32 v13, v7
	s_mul_i32 s9, s23, s18
	s_mov_b32 s33, 0
	s_branch .LBB63_11
.LBB63_10:                              ;   in Loop: Header=BB63_11 Depth=2
	v_dual_add_nc_u32 v14, s7, v13 :: v_dual_add_nc_u32 v13, 64, v13
	v_add_nc_u32_e32 v12, s30, v12
	s_delay_alu instid0(VALU_DEP_2) | instskip(NEXT) | instid1(VALU_DEP_3)
	v_mad_u32 v18, v14, s22, v1
	v_cmp_le_i32_e32 vcc_lo, s18, v13
	s_or_b32 s33, vcc_lo, s33
	global_load_b128 v[14:17], v18, s[20:21] scale_offset
	s_wait_loadcnt 0x0
	v_add_f64_e64 v[14:15], v[14:15], -v[4:5]
	v_add_f64_e64 v[16:17], v[16:17], -v[2:3]
	global_store_b128 v18, v[14:17], s[20:21] scale_offset
	s_wait_xcnt 0x0
	s_and_not1_b32 exec_lo, exec_lo, s33
	s_cbranch_execz .LBB63_17
.LBB63_11:                              ;   Parent Loop BB63_3 Depth=1
                                        ; =>  This Loop Header: Depth=2
                                        ;       Child Loop BB63_13 Depth 3
	v_mov_b64_e32 v[2:3], 0
	v_mov_b64_e32 v[4:5], 0
	s_delay_alu instid0(VALU_DEP_4)
	v_mov_b32_e32 v14, v11
	s_mov_b32 s34, 0
	s_branch .LBB63_13
.LBB63_12:                              ;   in Loop: Header=BB63_13 Depth=3
	global_load_b128 v[16:19], v15, s[16:17] scale_offset
	global_load_b128 v[20:23], v14, s[20:21] scale_offset
	s_wait_xcnt 0x0
	v_add_nc_u32_e32 v14, s22, v14
	s_add_co_i32 s34, s34, 1
	s_delay_alu instid0(SALU_CYCLE_1) | instskip(SKIP_3) | instid1(VALU_DEP_2)
	s_cmp_eq_u32 s18, s34
	s_wait_loadcnt 0x0
	v_fmac_f64_e32 v[4:5], v[16:17], v[20:21]
	v_fmac_f64_e32 v[2:3], v[18:19], v[20:21]
	v_fma_f64 v[4:5], -v[18:19], v[22:23], v[4:5]
	s_delay_alu instid0(VALU_DEP_2)
	v_fmac_f64_e32 v[2:3], v[16:17], v[22:23]
	s_cbranch_scc1 .LBB63_10
.LBB63_13:                              ;   Parent Loop BB63_3 Depth=1
                                        ;     Parent Loop BB63_11 Depth=2
                                        ; =>    This Inner Loop Header: Depth=3
	s_and_b32 vcc_lo, exec_lo, s28
	s_cbranch_vccz .LBB63_15
; %bb.14:                               ;   in Loop: Header=BB63_13 Depth=3
	s_add_co_i32 s35, s34, s9
	s_delay_alu instid0(SALU_CYCLE_1)
	v_mad_u32 v15, s35, s18, v13
	s_cbranch_execnz .LBB63_12
	s_branch .LBB63_16
.LBB63_15:                              ;   in Loop: Header=BB63_13 Depth=3
                                        ; implicit-def: $vgpr15
.LBB63_16:                              ;   in Loop: Header=BB63_13 Depth=3
	v_add_nc_u32_e32 v15, s34, v12
	s_branch .LBB63_12
.LBB63_17:                              ;   in Loop: Header=BB63_3 Depth=1
	s_or_b32 exec_lo, exec_lo, s8
	s_add_co_i32 s23, s23, 1
	v_add_nc_u32_e32 v8, s26, v8
	s_cmp_ge_i32 s23, s27
	s_cselect_b32 s8, -1, 0
	s_delay_alu instid0(SALU_CYCLE_1)
	s_and_b32 vcc_lo, exec_lo, s8
	s_cbranch_vccz .LBB63_3
	s_branch .LBB63_19
.LBB63_18:
	s_mov_b32 s31, s24
.LBB63_19:
	s_cmp_lt_i32 s6, s24
	v_cmp_gt_i32_e32 vcc_lo, s25, v1
	s_cselect_b32 s1, -1, 0
	s_cmp_eq_u32 s6, s31
	s_cselect_b32 s0, -1, 0
	s_delay_alu instid0(SALU_CYCLE_1) | instskip(NEXT) | instid1(SALU_CYCLE_1)
	s_and_b32 s0, s1, s0
	s_and_b32 s8, s0, vcc_lo
	s_cmp_gt_i32 s18, 0
	s_mov_b32 s0, 0
	s_cselect_b32 s9, -1, 0
	s_delay_alu instid0(SALU_CYCLE_1)
	s_and_b32 s9, s8, s9
	s_wait_xcnt 0x0
	s_and_saveexec_b32 s8, s9
	s_cbranch_execz .LBB63_35
; %bb.20:
	v_dual_add_nc_u32 v2, s7, v7 :: v_dual_add_nc_u32 v12, 1, v7
	s_cmp_eq_u32 s13, 0
	s_mov_b32 s9, 0
	s_cselect_b32 s10, -1, 0
	s_delay_alu instid0(VALU_DEP_1)
	v_mad_u32 v2, s22, v2, s22
	s_cmp_lg_u32 s14, 0
	s_mul_i32 s11, s23, s18
	s_cselect_b32 s13, -1, 0
	s_lshl_b32 s14, s22, 6
	s_mov_b32 s24, 0
	s_delay_alu instid0(VALU_DEP_1)
	v_add3_u32 v13, v6, v2, s19
	s_mul_i32 s19, s23, s26
	s_add_co_i32 s23, s18, 1
	s_branch .LBB63_22
.LBB63_21:                              ;   in Loop: Header=BB63_22 Depth=1
	s_or_b32 exec_lo, exec_lo, s0
	v_add_nc_u32_e32 v13, s22, v13
	s_add_co_i32 s9, s9, 1
	s_add_co_i32 s19, s19, s23
	s_cmp_eq_u32 s9, s18
	s_cbranch_scc1 .LBB63_34
.LBB63_22:                              ; =>This Loop Header: Depth=1
                                        ;     Child Loop BB63_30 Depth 2
	s_and_not1_b32 vcc_lo, exec_lo, s10
	s_cbranch_vccz .LBB63_24
; %bb.23:                               ;   in Loop: Header=BB63_22 Depth=1
	v_mov_b64_e32 v[8:9], 0
	v_mov_b64_e32 v[6:7], 1.0
	s_branch .LBB63_25
.LBB63_24:                              ;   in Loop: Header=BB63_22 Depth=1
	s_add_co_i32 s0, s9, s11
	s_delay_alu instid0(SALU_CYCLE_1) | instskip(NEXT) | instid1(SALU_CYCLE_1)
	s_mul_i32 s0, s0, s18
	s_add_co_i32 s0, s0, s9
	s_wait_loadcnt 0x0
	v_mov_b32_e32 v2, s0
	global_load_b128 v[6:9], v2, s[16:17] scale_offset
.LBB63_25:                              ;   in Loop: Header=BB63_22 Depth=1
	s_add_co_i32 s0, s9, s7
	s_wait_loadcnt 0x0
	s_delay_alu instid0(VALU_DEP_1) | instskip(SKIP_4) | instid1(SALU_CYCLE_1)
	v_cmp_eq_f64_e32 vcc_lo, 0, v[6:7]
	v_mad_u32 v10, s0, s22, v1
	v_cmp_eq_f64_e64 s0, 0, v[8:9]
	global_load_b128 v[2:5], v10, s[20:21] scale_offset
	s_and_b32 s0, vcc_lo, s0
	s_and_b32 vcc_lo, exec_lo, s0
	s_cbranch_vccnz .LBB63_27
; %bb.26:                               ;   in Loop: Header=BB63_22 Depth=1
	v_dual_mul_f64 v[14:15], v[8:9], v[8:9] :: v_dual_ashrrev_i32 v11, 31, v10
	s_wait_xcnt 0x0
	s_delay_alu instid0(VALU_DEP_1) | instskip(NEXT) | instid1(VALU_DEP_2)
	v_lshl_add_u64 v[10:11], v[10:11], 4, s[20:21]
	v_fmac_f64_e32 v[14:15], v[6:7], v[6:7]
	s_delay_alu instid0(VALU_DEP_1) | instskip(SKIP_1) | instid1(VALU_DEP_2)
	v_div_scale_f64 v[16:17], null, v[14:15], v[14:15], 1.0
	v_div_scale_f64 v[22:23], vcc_lo, 1.0, v[14:15], 1.0
	v_rcp_f64_e32 v[18:19], v[16:17]
	v_nop
	s_delay_alu instid0(TRANS32_DEP_1) | instskip(NEXT) | instid1(VALU_DEP_1)
	v_fma_f64 v[20:21], -v[16:17], v[18:19], 1.0
	v_fmac_f64_e32 v[18:19], v[18:19], v[20:21]
	s_delay_alu instid0(VALU_DEP_1) | instskip(NEXT) | instid1(VALU_DEP_1)
	v_fma_f64 v[20:21], -v[16:17], v[18:19], 1.0
	v_fmac_f64_e32 v[18:19], v[18:19], v[20:21]
	s_delay_alu instid0(VALU_DEP_1) | instskip(NEXT) | instid1(VALU_DEP_1)
	v_mul_f64_e32 v[20:21], v[22:23], v[18:19]
	v_fma_f64 v[16:17], -v[16:17], v[20:21], v[22:23]
	s_wait_loadcnt 0x0
	v_mul_f64_e64 v[22:23], v[8:9], -v[2:3]
	s_delay_alu instid0(VALU_DEP_2) | instskip(SKIP_1) | instid1(VALU_DEP_3)
	v_div_fmas_f64 v[16:17], v[16:17], v[18:19], v[20:21]
	v_mul_f64_e32 v[18:19], v[8:9], v[4:5]
	v_fmac_f64_e32 v[22:23], v[4:5], v[6:7]
	s_delay_alu instid0(VALU_DEP_3) | instskip(NEXT) | instid1(VALU_DEP_3)
	v_div_fixup_f64 v[4:5], v[16:17], v[14:15], 1.0
	v_fmac_f64_e32 v[18:19], v[2:3], v[6:7]
	s_delay_alu instid0(VALU_DEP_2) | instskip(NEXT) | instid1(VALU_DEP_2)
	v_mul_f64_e32 v[8:9], v[4:5], v[22:23]
	v_mul_f64_e32 v[6:7], v[4:5], v[18:19]
	s_delay_alu instid0(VALU_DEP_2) | instskip(NEXT) | instid1(VALU_DEP_2)
	v_mov_b64_e32 v[4:5], v[8:9]
	v_mov_b64_e32 v[2:3], v[6:7]
	global_store_b128 v[10:11], v[6:9], off
	s_wait_xcnt 0x0
	v_add_nc_u32_e32 v6, s9, v12
	s_mov_b32 s0, exec_lo
	s_delay_alu instid0(VALU_DEP_1)
	v_cmpx_gt_i32_e64 s18, v6
	s_cbranch_execz .LBB63_21
	s_branch .LBB63_28
.LBB63_27:                              ;   in Loop: Header=BB63_22 Depth=1
	s_mov_b32 s24, -1
	v_add_nc_u32_e32 v6, s9, v12
	s_mov_b32 s0, exec_lo
	s_wait_xcnt 0x0
	s_delay_alu instid0(VALU_DEP_1)
	v_cmpx_gt_i32_e64 s18, v6
	s_cbranch_execz .LBB63_21
.LBB63_28:                              ;   in Loop: Header=BB63_22 Depth=1
	v_dual_mov_b32 v7, v13 :: v_dual_mov_b32 v8, v12
	s_mov_b32 s25, 0
	s_branch .LBB63_30
.LBB63_29:                              ;   in Loop: Header=BB63_30 Depth=2
	global_load_b128 v[14:17], v9, s[16:17] scale_offset
	global_load_b128 v[18:21], v7, s[20:21] scale_offset
	v_dual_add_nc_u32 v6, 64, v6 :: v_dual_add_nc_u32 v8, 64, v8
	s_wait_xcnt 0x1
	s_delay_alu instid0(VALU_DEP_1) | instskip(NEXT) | instid1(VALU_DEP_1)
	v_add_nc_u32_e32 v9, s9, v8
	v_cmp_le_i32_e32 vcc_lo, s18, v9
	s_or_b32 s25, vcc_lo, s25
	s_wait_loadcnt 0x1
	v_mul_f64_e64 v[10:11], v[16:17], -v[4:5]
	v_mul_f64_e32 v[16:17], v[2:3], v[16:17]
	s_delay_alu instid0(VALU_DEP_2) | instskip(NEXT) | instid1(VALU_DEP_2)
	v_fmac_f64_e32 v[10:11], v[2:3], v[14:15]
	v_fmac_f64_e32 v[16:17], v[4:5], v[14:15]
	s_wait_loadcnt 0x0
	s_delay_alu instid0(VALU_DEP_2) | instskip(NEXT) | instid1(VALU_DEP_2)
	v_add_f64_e64 v[14:15], v[18:19], -v[10:11]
	v_add_f64_e64 v[16:17], v[20:21], -v[16:17]
	global_store_b128 v7, v[14:17], s[20:21] scale_offset
	s_wait_xcnt 0x0
	v_add_nc_u32_e32 v7, s14, v7
	s_and_not1_b32 exec_lo, exec_lo, s25
	s_cbranch_execz .LBB63_21
.LBB63_30:                              ;   Parent Loop BB63_22 Depth=1
                                        ; =>  This Inner Loop Header: Depth=2
	s_and_b32 vcc_lo, exec_lo, s13
	s_cbranch_vccz .LBB63_32
; %bb.31:                               ;   in Loop: Header=BB63_30 Depth=2
	v_add_nc_u32_e32 v9, s19, v8
	s_cbranch_execnz .LBB63_29
	s_branch .LBB63_33
.LBB63_32:                              ;   in Loop: Header=BB63_30 Depth=2
                                        ; implicit-def: $vgpr9
.LBB63_33:                              ;   in Loop: Header=BB63_30 Depth=2
	v_add_nc_u32_e32 v9, s11, v6
	s_delay_alu instid0(VALU_DEP_1)
	v_mad_u32 v9, v9, s18, s9
	s_branch .LBB63_29
.LBB63_34:
	s_and_b32 s0, s24, exec_lo
.LBB63_35:
	s_or_b32 exec_lo, exec_lo, s8
	v_cmp_eq_u32_e32 vcc_lo, 0, v0
	global_wb scope:SCOPE_DEV
	s_wait_loadcnt 0x0
	s_wait_storecnt 0x0
	global_inv scope:SCOPE_DEV
	s_wait_loadcnt 0x0
	s_barrier_signal -1
	s_barrier_wait -1
	s_and_b32 s1, vcc_lo, s1
	s_delay_alu instid0(SALU_CYCLE_1)
	s_and_saveexec_b32 s7, s1
	s_cbranch_execz .LBB63_39
; %bb.36:
	s_add_co_i32 s1, s6, s15
	s_delay_alu instid0(SALU_CYCLE_1)
	v_dual_mov_b32 v0, 1 :: v_dual_mov_b32 v1, s1
	global_store_b32 v1, v0, s[4:5] scale_offset scope:SCOPE_DEV
	s_wait_xcnt 0x0
	s_and_b32 exec_lo, exec_lo, s0
	s_cbranch_execz .LBB63_39
; %bb.37:
	v_mbcnt_lo_u32_b32 v0, exec_lo, 0
	s_delay_alu instid0(VALU_DEP_1)
	v_cmp_eq_u32_e32 vcc_lo, 0, v0
	s_and_b32 exec_lo, exec_lo, vcc_lo
	s_cbranch_execz .LBB63_39
; %bb.38:
	s_add_co_i32 s0, s6, s12
	s_delay_alu instid0(SALU_CYCLE_1)
	v_dual_mov_b32 v0, 0 :: v_dual_mov_b32 v1, s0
	global_atomic_min_i32 v0, v1, s[2:3] scope:SCOPE_DEV
.LBB63_39:
	s_endpgm
	.section	.rodata,"a",@progbits
	.p2align	6, 0x0
	.amdhsa_kernel _ZN9rocsparseL24bsrsm_lower_large_kernelILj1024ELj16ELb0E21rocsparse_complex_numIdEEEviiPKiS4_PKT2_iPS5_iPiS4_S9_21rocsparse_index_base_20rocsparse_diag_type_20rocsparse_direction_
		.amdhsa_group_segment_fixed_size 0
		.amdhsa_private_segment_fixed_size 0
		.amdhsa_kernarg_size 92
		.amdhsa_user_sgpr_count 2
		.amdhsa_user_sgpr_dispatch_ptr 0
		.amdhsa_user_sgpr_queue_ptr 0
		.amdhsa_user_sgpr_kernarg_segment_ptr 1
		.amdhsa_user_sgpr_dispatch_id 0
		.amdhsa_user_sgpr_kernarg_preload_length 0
		.amdhsa_user_sgpr_kernarg_preload_offset 0
		.amdhsa_user_sgpr_private_segment_size 0
		.amdhsa_wavefront_size32 1
		.amdhsa_uses_dynamic_stack 0
		.amdhsa_enable_private_segment 0
		.amdhsa_system_sgpr_workgroup_id_x 1
		.amdhsa_system_sgpr_workgroup_id_y 0
		.amdhsa_system_sgpr_workgroup_id_z 0
		.amdhsa_system_sgpr_workgroup_info 0
		.amdhsa_system_vgpr_workitem_id 0
		.amdhsa_next_free_vgpr 24
		.amdhsa_next_free_sgpr 36
		.amdhsa_named_barrier_count 0
		.amdhsa_reserve_vcc 1
		.amdhsa_float_round_mode_32 0
		.amdhsa_float_round_mode_16_64 0
		.amdhsa_float_denorm_mode_32 3
		.amdhsa_float_denorm_mode_16_64 3
		.amdhsa_fp16_overflow 0
		.amdhsa_memory_ordered 1
		.amdhsa_forward_progress 1
		.amdhsa_inst_pref_size 14
		.amdhsa_round_robin_scheduling 0
		.amdhsa_exception_fp_ieee_invalid_op 0
		.amdhsa_exception_fp_denorm_src 0
		.amdhsa_exception_fp_ieee_div_zero 0
		.amdhsa_exception_fp_ieee_overflow 0
		.amdhsa_exception_fp_ieee_underflow 0
		.amdhsa_exception_fp_ieee_inexact 0
		.amdhsa_exception_int_div_zero 0
	.end_amdhsa_kernel
	.section	.text._ZN9rocsparseL24bsrsm_lower_large_kernelILj1024ELj16ELb0E21rocsparse_complex_numIdEEEviiPKiS4_PKT2_iPS5_iPiS4_S9_21rocsparse_index_base_20rocsparse_diag_type_20rocsparse_direction_,"axG",@progbits,_ZN9rocsparseL24bsrsm_lower_large_kernelILj1024ELj16ELb0E21rocsparse_complex_numIdEEEviiPKiS4_PKT2_iPS5_iPiS4_S9_21rocsparse_index_base_20rocsparse_diag_type_20rocsparse_direction_,comdat
.Lfunc_end63:
	.size	_ZN9rocsparseL24bsrsm_lower_large_kernelILj1024ELj16ELb0E21rocsparse_complex_numIdEEEviiPKiS4_PKT2_iPS5_iPiS4_S9_21rocsparse_index_base_20rocsparse_diag_type_20rocsparse_direction_, .Lfunc_end63-_ZN9rocsparseL24bsrsm_lower_large_kernelILj1024ELj16ELb0E21rocsparse_complex_numIdEEEviiPKiS4_PKT2_iPS5_iPiS4_S9_21rocsparse_index_base_20rocsparse_diag_type_20rocsparse_direction_
                                        ; -- End function
	.set _ZN9rocsparseL24bsrsm_lower_large_kernelILj1024ELj16ELb0E21rocsparse_complex_numIdEEEviiPKiS4_PKT2_iPS5_iPiS4_S9_21rocsparse_index_base_20rocsparse_diag_type_20rocsparse_direction_.num_vgpr, 24
	.set _ZN9rocsparseL24bsrsm_lower_large_kernelILj1024ELj16ELb0E21rocsparse_complex_numIdEEEviiPKiS4_PKT2_iPS5_iPiS4_S9_21rocsparse_index_base_20rocsparse_diag_type_20rocsparse_direction_.num_agpr, 0
	.set _ZN9rocsparseL24bsrsm_lower_large_kernelILj1024ELj16ELb0E21rocsparse_complex_numIdEEEviiPKiS4_PKT2_iPS5_iPiS4_S9_21rocsparse_index_base_20rocsparse_diag_type_20rocsparse_direction_.numbered_sgpr, 36
	.set _ZN9rocsparseL24bsrsm_lower_large_kernelILj1024ELj16ELb0E21rocsparse_complex_numIdEEEviiPKiS4_PKT2_iPS5_iPiS4_S9_21rocsparse_index_base_20rocsparse_diag_type_20rocsparse_direction_.num_named_barrier, 0
	.set _ZN9rocsparseL24bsrsm_lower_large_kernelILj1024ELj16ELb0E21rocsparse_complex_numIdEEEviiPKiS4_PKT2_iPS5_iPiS4_S9_21rocsparse_index_base_20rocsparse_diag_type_20rocsparse_direction_.private_seg_size, 0
	.set _ZN9rocsparseL24bsrsm_lower_large_kernelILj1024ELj16ELb0E21rocsparse_complex_numIdEEEviiPKiS4_PKT2_iPS5_iPiS4_S9_21rocsparse_index_base_20rocsparse_diag_type_20rocsparse_direction_.uses_vcc, 1
	.set _ZN9rocsparseL24bsrsm_lower_large_kernelILj1024ELj16ELb0E21rocsparse_complex_numIdEEEviiPKiS4_PKT2_iPS5_iPiS4_S9_21rocsparse_index_base_20rocsparse_diag_type_20rocsparse_direction_.uses_flat_scratch, 0
	.set _ZN9rocsparseL24bsrsm_lower_large_kernelILj1024ELj16ELb0E21rocsparse_complex_numIdEEEviiPKiS4_PKT2_iPS5_iPiS4_S9_21rocsparse_index_base_20rocsparse_diag_type_20rocsparse_direction_.has_dyn_sized_stack, 0
	.set _ZN9rocsparseL24bsrsm_lower_large_kernelILj1024ELj16ELb0E21rocsparse_complex_numIdEEEviiPKiS4_PKT2_iPS5_iPiS4_S9_21rocsparse_index_base_20rocsparse_diag_type_20rocsparse_direction_.has_recursion, 0
	.set _ZN9rocsparseL24bsrsm_lower_large_kernelILj1024ELj16ELb0E21rocsparse_complex_numIdEEEviiPKiS4_PKT2_iPS5_iPiS4_S9_21rocsparse_index_base_20rocsparse_diag_type_20rocsparse_direction_.has_indirect_call, 0
	.section	.AMDGPU.csdata,"",@progbits
; Kernel info:
; codeLenInByte = 1788
; TotalNumSgprs: 38
; NumVgprs: 24
; ScratchSize: 0
; MemoryBound: 0
; FloatMode: 240
; IeeeMode: 1
; LDSByteSize: 0 bytes/workgroup (compile time only)
; SGPRBlocks: 0
; VGPRBlocks: 1
; NumSGPRsForWavesPerEU: 38
; NumVGPRsForWavesPerEU: 24
; NamedBarCnt: 0
; Occupancy: 16
; WaveLimiterHint : 1
; COMPUTE_PGM_RSRC2:SCRATCH_EN: 0
; COMPUTE_PGM_RSRC2:USER_SGPR: 2
; COMPUTE_PGM_RSRC2:TRAP_HANDLER: 0
; COMPUTE_PGM_RSRC2:TGID_X_EN: 1
; COMPUTE_PGM_RSRC2:TGID_Y_EN: 0
; COMPUTE_PGM_RSRC2:TGID_Z_EN: 0
; COMPUTE_PGM_RSRC2:TIDIG_COMP_CNT: 0
	.section	.AMDGPU.gpr_maximums,"",@progbits
	.set amdgpu.max_num_vgpr, 0
	.set amdgpu.max_num_agpr, 0
	.set amdgpu.max_num_sgpr, 0
	.section	.AMDGPU.csdata,"",@progbits
	.type	__hip_cuid_738e3adcb726819,@object ; @__hip_cuid_738e3adcb726819
	.section	.bss,"aw",@nobits
	.globl	__hip_cuid_738e3adcb726819
__hip_cuid_738e3adcb726819:
	.byte	0                               ; 0x0
	.size	__hip_cuid_738e3adcb726819, 1

	.ident	"AMD clang version 22.0.0git (https://github.com/RadeonOpenCompute/llvm-project roc-7.2.4 26084 f58b06dce1f9c15707c5f808fd002e18c2accf7e)"
	.section	".note.GNU-stack","",@progbits
	.addrsig
	.addrsig_sym __hip_cuid_738e3adcb726819
	.amdgpu_metadata
---
amdhsa.kernels:
  - .args:
      - .offset:         0
        .size:           4
        .value_kind:     by_value
      - .offset:         4
        .size:           4
        .value_kind:     by_value
      - .offset:         8
        .size:           8
        .value_kind:     by_value
      - .address_space:  global
        .offset:         16
        .size:           8
        .value_kind:     global_buffer
      - .offset:         24
        .size:           8
        .value_kind:     by_value
      - .address_space:  global
        .offset:         32
        .size:           8
        .value_kind:     global_buffer
      - .offset:         40
        .size:           8
        .value_kind:     by_value
      - .offset:         48
        .size:           1
        .value_kind:     by_value
      - .offset:         56
        .size:           4
        .value_kind:     hidden_block_count_x
      - .offset:         60
        .size:           4
        .value_kind:     hidden_block_count_y
      - .offset:         64
        .size:           4
        .value_kind:     hidden_block_count_z
      - .offset:         68
        .size:           2
        .value_kind:     hidden_group_size_x
      - .offset:         70
        .size:           2
        .value_kind:     hidden_group_size_y
      - .offset:         72
        .size:           2
        .value_kind:     hidden_group_size_z
      - .offset:         74
        .size:           2
        .value_kind:     hidden_remainder_x
      - .offset:         76
        .size:           2
        .value_kind:     hidden_remainder_y
      - .offset:         78
        .size:           2
        .value_kind:     hidden_remainder_z
      - .offset:         96
        .size:           8
        .value_kind:     hidden_global_offset_x
      - .offset:         104
        .size:           8
        .value_kind:     hidden_global_offset_y
      - .offset:         112
        .size:           8
        .value_kind:     hidden_global_offset_z
      - .offset:         120
        .size:           2
        .value_kind:     hidden_grid_dims
    .group_segment_fixed_size: 0
    .kernarg_segment_align: 8
    .kernarg_segment_size: 312
    .language:       OpenCL C
    .language_version:
      - 2
      - 0
    .max_flat_workgroup_size: 1024
    .name:           _ZN9rocsparseL16bsrsm_copy_scaleILj1024EfEEviiNS_24const_host_device_scalarIT0_EEPKS2_lPS2_lb
    .private_segment_fixed_size: 0
    .sgpr_count:     17
    .sgpr_spill_count: 0
    .symbol:         _ZN9rocsparseL16bsrsm_copy_scaleILj1024EfEEviiNS_24const_host_device_scalarIT0_EEPKS2_lPS2_lb.kd
    .uniform_work_group_size: 1
    .uses_dynamic_stack: false
    .vgpr_count:     6
    .vgpr_spill_count: 0
    .wavefront_size: 32
  - .args:
      - .offset:         0
        .size:           4
        .value_kind:     by_value
      - .offset:         4
        .size:           4
        .value_kind:     by_value
      - .actual_access:  read_only
        .address_space:  global
        .offset:         8
        .size:           8
        .value_kind:     global_buffer
      - .actual_access:  read_only
        .address_space:  global
        .offset:         16
        .size:           8
        .value_kind:     global_buffer
      - .actual_access:  write_only
        .address_space:  global
        .offset:         24
        .size:           8
        .value_kind:     global_buffer
      - .offset:         32
        .size:           4
        .value_kind:     by_value
    .group_segment_fixed_size: 0
    .kernarg_segment_align: 8
    .kernarg_segment_size: 36
    .language:       OpenCL C
    .language_version:
      - 2
      - 0
    .max_flat_workgroup_size: 256
    .name:           _ZN9rocsparseL10bsr_gatherILj4ELj64ELj2EifEEv20rocsparse_direction_T2_PKS2_PKT3_PS5_S2_
    .private_segment_fixed_size: 0
    .sgpr_count:     18
    .sgpr_spill_count: 0
    .symbol:         _ZN9rocsparseL10bsr_gatherILj4ELj64ELj2EifEEv20rocsparse_direction_T2_PKS2_PKT3_PS5_S2_.kd
    .uniform_work_group_size: 1
    .uses_dynamic_stack: false
    .vgpr_count:     25
    .vgpr_spill_count: 0
    .wavefront_size: 32
  - .args:
      - .offset:         0
        .size:           4
        .value_kind:     by_value
      - .offset:         4
        .size:           4
        .value_kind:     by_value
      - .actual_access:  read_only
        .address_space:  global
        .offset:         8
        .size:           8
        .value_kind:     global_buffer
      - .actual_access:  read_only
        .address_space:  global
        .offset:         16
        .size:           8
        .value_kind:     global_buffer
      - .actual_access:  write_only
        .address_space:  global
        .offset:         24
        .size:           8
        .value_kind:     global_buffer
      - .offset:         32
        .size:           4
        .value_kind:     by_value
    .group_segment_fixed_size: 0
    .kernarg_segment_align: 8
    .kernarg_segment_size: 36
    .language:       OpenCL C
    .language_version:
      - 2
      - 0
    .max_flat_workgroup_size: 256
    .name:           _ZN9rocsparseL10bsr_gatherILj16ELj16ELj4EifEEv20rocsparse_direction_T2_PKS2_PKT3_PS5_S2_
    .private_segment_fixed_size: 0
    .sgpr_count:     18
    .sgpr_spill_count: 0
    .symbol:         _ZN9rocsparseL10bsr_gatherILj16ELj16ELj4EifEEv20rocsparse_direction_T2_PKS2_PKT3_PS5_S2_.kd
    .uniform_work_group_size: 1
    .uses_dynamic_stack: false
    .vgpr_count:     25
    .vgpr_spill_count: 0
    .wavefront_size: 32
  - .args:
      - .offset:         0
        .size:           4
        .value_kind:     by_value
      - .offset:         4
        .size:           4
        .value_kind:     by_value
      - .actual_access:  read_only
        .address_space:  global
        .offset:         8
        .size:           8
        .value_kind:     global_buffer
      - .actual_access:  read_only
        .address_space:  global
        .offset:         16
        .size:           8
        .value_kind:     global_buffer
      - .actual_access:  write_only
        .address_space:  global
        .offset:         24
        .size:           8
        .value_kind:     global_buffer
      - .offset:         32
        .size:           4
        .value_kind:     by_value
    .group_segment_fixed_size: 0
    .kernarg_segment_align: 8
    .kernarg_segment_size: 36
    .language:       OpenCL C
    .language_version:
      - 2
      - 0
    .max_flat_workgroup_size: 256
    .name:           _ZN9rocsparseL10bsr_gatherILj64ELj4ELj8EifEEv20rocsparse_direction_T2_PKS2_PKT3_PS5_S2_
    .private_segment_fixed_size: 0
    .sgpr_count:     18
    .sgpr_spill_count: 0
    .symbol:         _ZN9rocsparseL10bsr_gatherILj64ELj4ELj8EifEEv20rocsparse_direction_T2_PKS2_PKT3_PS5_S2_.kd
    .uniform_work_group_size: 1
    .uses_dynamic_stack: false
    .vgpr_count:     25
    .vgpr_spill_count: 0
    .wavefront_size: 32
  - .args:
      - .offset:         0
        .size:           4
        .value_kind:     by_value
      - .offset:         4
        .size:           4
        .value_kind:     by_value
      - .address_space:  global
        .offset:         8
        .size:           8
        .value_kind:     global_buffer
      - .address_space:  global
        .offset:         16
        .size:           8
        .value_kind:     global_buffer
      - .address_space:  global
        .offset:         24
        .size:           8
        .value_kind:     global_buffer
      - .offset:         32
        .size:           4
        .value_kind:     by_value
      - .address_space:  global
        .offset:         40
        .size:           8
        .value_kind:     global_buffer
      - .offset:         48
        .size:           4
        .value_kind:     by_value
      - .address_space:  global
        .offset:         56
        .size:           8
        .value_kind:     global_buffer
      - .address_space:  global
        .offset:         64
        .size:           8
        .value_kind:     global_buffer
      - .address_space:  global
        .offset:         72
        .size:           8
        .value_kind:     global_buffer
      - .offset:         80
        .size:           4
        .value_kind:     by_value
      - .offset:         84
        .size:           4
        .value_kind:     by_value
      - .offset:         88
        .size:           4
        .value_kind:     by_value
    .group_segment_fixed_size: 0
    .kernarg_segment_align: 8
    .kernarg_segment_size: 92
    .language:       OpenCL C
    .language_version:
      - 2
      - 0
    .max_flat_workgroup_size: 256
    .name:           _ZN9rocsparseL24bsrsm_upper_large_kernelILj256ELj16ELb1EfEEviiPKiS2_PKT2_iPS3_iPiS2_S7_21rocsparse_index_base_20rocsparse_diag_type_20rocsparse_direction_
    .private_segment_fixed_size: 0
    .sgpr_count:     38
    .sgpr_spill_count: 0
    .symbol:         _ZN9rocsparseL24bsrsm_upper_large_kernelILj256ELj16ELb1EfEEviiPKiS2_PKT2_iPS3_iPiS2_S7_21rocsparse_index_base_20rocsparse_diag_type_20rocsparse_direction_.kd
    .uniform_work_group_size: 1
    .uses_dynamic_stack: false
    .vgpr_count:     14
    .vgpr_spill_count: 0
    .wavefront_size: 32
  - .args:
      - .offset:         0
        .size:           4
        .value_kind:     by_value
      - .offset:         4
        .size:           4
        .value_kind:     by_value
      - .address_space:  global
        .offset:         8
        .size:           8
        .value_kind:     global_buffer
      - .address_space:  global
        .offset:         16
        .size:           8
        .value_kind:     global_buffer
      - .address_space:  global
        .offset:         24
        .size:           8
        .value_kind:     global_buffer
      - .offset:         32
        .size:           4
        .value_kind:     by_value
      - .address_space:  global
        .offset:         40
        .size:           8
        .value_kind:     global_buffer
      - .offset:         48
        .size:           4
        .value_kind:     by_value
      - .address_space:  global
        .offset:         56
        .size:           8
        .value_kind:     global_buffer
      - .address_space:  global
        .offset:         64
        .size:           8
        .value_kind:     global_buffer
      - .address_space:  global
        .offset:         72
        .size:           8
        .value_kind:     global_buffer
      - .offset:         80
        .size:           4
        .value_kind:     by_value
      - .offset:         84
        .size:           4
        .value_kind:     by_value
      - .offset:         88
        .size:           4
        .value_kind:     by_value
    .group_segment_fixed_size: 0
    .kernarg_segment_align: 8
    .kernarg_segment_size: 92
    .language:       OpenCL C
    .language_version:
      - 2
      - 0
    .max_flat_workgroup_size: 256
    .name:           _ZN9rocsparseL24bsrsm_lower_large_kernelILj256ELj16ELb1EfEEviiPKiS2_PKT2_iPS3_iPiS2_S7_21rocsparse_index_base_20rocsparse_diag_type_20rocsparse_direction_
    .private_segment_fixed_size: 0
    .sgpr_count:     38
    .sgpr_spill_count: 0
    .symbol:         _ZN9rocsparseL24bsrsm_lower_large_kernelILj256ELj16ELb1EfEEviiPKiS2_PKT2_iPS3_iPiS2_S7_21rocsparse_index_base_20rocsparse_diag_type_20rocsparse_direction_.kd
    .uniform_work_group_size: 1
    .uses_dynamic_stack: false
    .vgpr_count:     14
    .vgpr_spill_count: 0
    .wavefront_size: 32
  - .args:
      - .offset:         0
        .size:           4
        .value_kind:     by_value
      - .offset:         4
        .size:           4
        .value_kind:     by_value
      - .address_space:  global
        .offset:         8
        .size:           8
        .value_kind:     global_buffer
      - .address_space:  global
        .offset:         16
        .size:           8
        .value_kind:     global_buffer
      - .address_space:  global
        .offset:         24
        .size:           8
        .value_kind:     global_buffer
      - .offset:         32
        .size:           4
        .value_kind:     by_value
      - .address_space:  global
        .offset:         40
        .size:           8
        .value_kind:     global_buffer
      - .offset:         48
        .size:           4
        .value_kind:     by_value
      - .address_space:  global
        .offset:         56
        .size:           8
        .value_kind:     global_buffer
      - .address_space:  global
        .offset:         64
        .size:           8
        .value_kind:     global_buffer
      - .address_space:  global
        .offset:         72
        .size:           8
        .value_kind:     global_buffer
      - .offset:         80
        .size:           4
        .value_kind:     by_value
      - .offset:         84
        .size:           4
        .value_kind:     by_value
      - .offset:         88
        .size:           4
        .value_kind:     by_value
    .group_segment_fixed_size: 0
    .kernarg_segment_align: 8
    .kernarg_segment_size: 92
    .language:       OpenCL C
    .language_version:
      - 2
      - 0
    .max_flat_workgroup_size: 64
    .name:           _ZN9rocsparseL24bsrsm_upper_large_kernelILj64ELj16ELb0EfEEviiPKiS2_PKT2_iPS3_iPiS2_S7_21rocsparse_index_base_20rocsparse_diag_type_20rocsparse_direction_
    .private_segment_fixed_size: 0
    .sgpr_count:     38
    .sgpr_spill_count: 0
    .symbol:         _ZN9rocsparseL24bsrsm_upper_large_kernelILj64ELj16ELb0EfEEviiPKiS2_PKT2_iPS3_iPiS2_S7_21rocsparse_index_base_20rocsparse_diag_type_20rocsparse_direction_.kd
    .uniform_work_group_size: 1
    .uses_dynamic_stack: false
    .vgpr_count:     14
    .vgpr_spill_count: 0
    .wavefront_size: 32
  - .args:
      - .offset:         0
        .size:           4
        .value_kind:     by_value
      - .offset:         4
        .size:           4
        .value_kind:     by_value
      - .address_space:  global
        .offset:         8
        .size:           8
        .value_kind:     global_buffer
      - .address_space:  global
        .offset:         16
        .size:           8
        .value_kind:     global_buffer
      - .address_space:  global
        .offset:         24
        .size:           8
        .value_kind:     global_buffer
      - .offset:         32
        .size:           4
        .value_kind:     by_value
      - .address_space:  global
        .offset:         40
        .size:           8
        .value_kind:     global_buffer
      - .offset:         48
        .size:           4
        .value_kind:     by_value
      - .address_space:  global
        .offset:         56
        .size:           8
        .value_kind:     global_buffer
      - .address_space:  global
        .offset:         64
        .size:           8
        .value_kind:     global_buffer
      - .address_space:  global
        .offset:         72
        .size:           8
        .value_kind:     global_buffer
      - .offset:         80
        .size:           4
        .value_kind:     by_value
      - .offset:         84
        .size:           4
        .value_kind:     by_value
      - .offset:         88
        .size:           4
        .value_kind:     by_value
    .group_segment_fixed_size: 0
    .kernarg_segment_align: 8
    .kernarg_segment_size: 92
    .language:       OpenCL C
    .language_version:
      - 2
      - 0
    .max_flat_workgroup_size: 64
    .name:           _ZN9rocsparseL24bsrsm_lower_large_kernelILj64ELj16ELb0EfEEviiPKiS2_PKT2_iPS3_iPiS2_S7_21rocsparse_index_base_20rocsparse_diag_type_20rocsparse_direction_
    .private_segment_fixed_size: 0
    .sgpr_count:     38
    .sgpr_spill_count: 0
    .symbol:         _ZN9rocsparseL24bsrsm_lower_large_kernelILj64ELj16ELb0EfEEviiPKiS2_PKT2_iPS3_iPiS2_S7_21rocsparse_index_base_20rocsparse_diag_type_20rocsparse_direction_.kd
    .uniform_work_group_size: 1
    .uses_dynamic_stack: false
    .vgpr_count:     14
    .vgpr_spill_count: 0
    .wavefront_size: 32
  - .args:
      - .offset:         0
        .size:           4
        .value_kind:     by_value
      - .offset:         4
        .size:           4
        .value_kind:     by_value
      - .address_space:  global
        .offset:         8
        .size:           8
        .value_kind:     global_buffer
      - .address_space:  global
        .offset:         16
        .size:           8
        .value_kind:     global_buffer
      - .address_space:  global
        .offset:         24
        .size:           8
        .value_kind:     global_buffer
      - .offset:         32
        .size:           4
        .value_kind:     by_value
      - .address_space:  global
        .offset:         40
        .size:           8
        .value_kind:     global_buffer
      - .offset:         48
        .size:           4
        .value_kind:     by_value
      - .address_space:  global
        .offset:         56
        .size:           8
        .value_kind:     global_buffer
      - .address_space:  global
        .offset:         64
        .size:           8
        .value_kind:     global_buffer
      - .address_space:  global
        .offset:         72
        .size:           8
        .value_kind:     global_buffer
      - .offset:         80
        .size:           4
        .value_kind:     by_value
      - .offset:         84
        .size:           4
        .value_kind:     by_value
      - .offset:         88
        .size:           4
        .value_kind:     by_value
    .group_segment_fixed_size: 0
    .kernarg_segment_align: 8
    .kernarg_segment_size: 92
    .language:       OpenCL C
    .language_version:
      - 2
      - 0
    .max_flat_workgroup_size: 128
    .name:           _ZN9rocsparseL24bsrsm_upper_large_kernelILj128ELj16ELb0EfEEviiPKiS2_PKT2_iPS3_iPiS2_S7_21rocsparse_index_base_20rocsparse_diag_type_20rocsparse_direction_
    .private_segment_fixed_size: 0
    .sgpr_count:     38
    .sgpr_spill_count: 0
    .symbol:         _ZN9rocsparseL24bsrsm_upper_large_kernelILj128ELj16ELb0EfEEviiPKiS2_PKT2_iPS3_iPiS2_S7_21rocsparse_index_base_20rocsparse_diag_type_20rocsparse_direction_.kd
    .uniform_work_group_size: 1
    .uses_dynamic_stack: false
    .vgpr_count:     14
    .vgpr_spill_count: 0
    .wavefront_size: 32
  - .args:
      - .offset:         0
        .size:           4
        .value_kind:     by_value
      - .offset:         4
        .size:           4
        .value_kind:     by_value
      - .address_space:  global
        .offset:         8
        .size:           8
        .value_kind:     global_buffer
      - .address_space:  global
        .offset:         16
        .size:           8
        .value_kind:     global_buffer
      - .address_space:  global
        .offset:         24
        .size:           8
        .value_kind:     global_buffer
      - .offset:         32
        .size:           4
        .value_kind:     by_value
      - .address_space:  global
        .offset:         40
        .size:           8
        .value_kind:     global_buffer
      - .offset:         48
        .size:           4
        .value_kind:     by_value
      - .address_space:  global
        .offset:         56
        .size:           8
        .value_kind:     global_buffer
      - .address_space:  global
        .offset:         64
        .size:           8
        .value_kind:     global_buffer
      - .address_space:  global
        .offset:         72
        .size:           8
        .value_kind:     global_buffer
      - .offset:         80
        .size:           4
        .value_kind:     by_value
      - .offset:         84
        .size:           4
        .value_kind:     by_value
      - .offset:         88
        .size:           4
        .value_kind:     by_value
    .group_segment_fixed_size: 0
    .kernarg_segment_align: 8
    .kernarg_segment_size: 92
    .language:       OpenCL C
    .language_version:
      - 2
      - 0
    .max_flat_workgroup_size: 128
    .name:           _ZN9rocsparseL24bsrsm_lower_large_kernelILj128ELj16ELb0EfEEviiPKiS2_PKT2_iPS3_iPiS2_S7_21rocsparse_index_base_20rocsparse_diag_type_20rocsparse_direction_
    .private_segment_fixed_size: 0
    .sgpr_count:     38
    .sgpr_spill_count: 0
    .symbol:         _ZN9rocsparseL24bsrsm_lower_large_kernelILj128ELj16ELb0EfEEviiPKiS2_PKT2_iPS3_iPiS2_S7_21rocsparse_index_base_20rocsparse_diag_type_20rocsparse_direction_.kd
    .uniform_work_group_size: 1
    .uses_dynamic_stack: false
    .vgpr_count:     14
    .vgpr_spill_count: 0
    .wavefront_size: 32
  - .args:
      - .offset:         0
        .size:           4
        .value_kind:     by_value
      - .offset:         4
        .size:           4
        .value_kind:     by_value
      - .address_space:  global
        .offset:         8
        .size:           8
        .value_kind:     global_buffer
      - .address_space:  global
        .offset:         16
        .size:           8
        .value_kind:     global_buffer
      - .address_space:  global
        .offset:         24
        .size:           8
        .value_kind:     global_buffer
      - .offset:         32
        .size:           4
        .value_kind:     by_value
      - .address_space:  global
        .offset:         40
        .size:           8
        .value_kind:     global_buffer
      - .offset:         48
        .size:           4
        .value_kind:     by_value
      - .address_space:  global
        .offset:         56
        .size:           8
        .value_kind:     global_buffer
      - .address_space:  global
        .offset:         64
        .size:           8
        .value_kind:     global_buffer
      - .address_space:  global
        .offset:         72
        .size:           8
        .value_kind:     global_buffer
      - .offset:         80
        .size:           4
        .value_kind:     by_value
      - .offset:         84
        .size:           4
        .value_kind:     by_value
      - .offset:         88
        .size:           4
        .value_kind:     by_value
    .group_segment_fixed_size: 0
    .kernarg_segment_align: 8
    .kernarg_segment_size: 92
    .language:       OpenCL C
    .language_version:
      - 2
      - 0
    .max_flat_workgroup_size: 256
    .name:           _ZN9rocsparseL24bsrsm_upper_large_kernelILj256ELj16ELb0EfEEviiPKiS2_PKT2_iPS3_iPiS2_S7_21rocsparse_index_base_20rocsparse_diag_type_20rocsparse_direction_
    .private_segment_fixed_size: 0
    .sgpr_count:     38
    .sgpr_spill_count: 0
    .symbol:         _ZN9rocsparseL24bsrsm_upper_large_kernelILj256ELj16ELb0EfEEviiPKiS2_PKT2_iPS3_iPiS2_S7_21rocsparse_index_base_20rocsparse_diag_type_20rocsparse_direction_.kd
    .uniform_work_group_size: 1
    .uses_dynamic_stack: false
    .vgpr_count:     14
    .vgpr_spill_count: 0
    .wavefront_size: 32
  - .args:
      - .offset:         0
        .size:           4
        .value_kind:     by_value
      - .offset:         4
        .size:           4
        .value_kind:     by_value
      - .address_space:  global
        .offset:         8
        .size:           8
        .value_kind:     global_buffer
      - .address_space:  global
        .offset:         16
        .size:           8
        .value_kind:     global_buffer
      - .address_space:  global
        .offset:         24
        .size:           8
        .value_kind:     global_buffer
      - .offset:         32
        .size:           4
        .value_kind:     by_value
      - .address_space:  global
        .offset:         40
        .size:           8
        .value_kind:     global_buffer
      - .offset:         48
        .size:           4
        .value_kind:     by_value
      - .address_space:  global
        .offset:         56
        .size:           8
        .value_kind:     global_buffer
      - .address_space:  global
        .offset:         64
        .size:           8
        .value_kind:     global_buffer
      - .address_space:  global
        .offset:         72
        .size:           8
        .value_kind:     global_buffer
      - .offset:         80
        .size:           4
        .value_kind:     by_value
      - .offset:         84
        .size:           4
        .value_kind:     by_value
      - .offset:         88
        .size:           4
        .value_kind:     by_value
    .group_segment_fixed_size: 0
    .kernarg_segment_align: 8
    .kernarg_segment_size: 92
    .language:       OpenCL C
    .language_version:
      - 2
      - 0
    .max_flat_workgroup_size: 256
    .name:           _ZN9rocsparseL24bsrsm_lower_large_kernelILj256ELj16ELb0EfEEviiPKiS2_PKT2_iPS3_iPiS2_S7_21rocsparse_index_base_20rocsparse_diag_type_20rocsparse_direction_
    .private_segment_fixed_size: 0
    .sgpr_count:     38
    .sgpr_spill_count: 0
    .symbol:         _ZN9rocsparseL24bsrsm_lower_large_kernelILj256ELj16ELb0EfEEviiPKiS2_PKT2_iPS3_iPiS2_S7_21rocsparse_index_base_20rocsparse_diag_type_20rocsparse_direction_.kd
    .uniform_work_group_size: 1
    .uses_dynamic_stack: false
    .vgpr_count:     14
    .vgpr_spill_count: 0
    .wavefront_size: 32
  - .args:
      - .offset:         0
        .size:           4
        .value_kind:     by_value
      - .offset:         4
        .size:           4
        .value_kind:     by_value
      - .address_space:  global
        .offset:         8
        .size:           8
        .value_kind:     global_buffer
      - .address_space:  global
        .offset:         16
        .size:           8
        .value_kind:     global_buffer
      - .address_space:  global
        .offset:         24
        .size:           8
        .value_kind:     global_buffer
      - .offset:         32
        .size:           4
        .value_kind:     by_value
      - .address_space:  global
        .offset:         40
        .size:           8
        .value_kind:     global_buffer
      - .offset:         48
        .size:           4
        .value_kind:     by_value
      - .address_space:  global
        .offset:         56
        .size:           8
        .value_kind:     global_buffer
      - .address_space:  global
        .offset:         64
        .size:           8
        .value_kind:     global_buffer
      - .address_space:  global
        .offset:         72
        .size:           8
        .value_kind:     global_buffer
      - .offset:         80
        .size:           4
        .value_kind:     by_value
      - .offset:         84
        .size:           4
        .value_kind:     by_value
      - .offset:         88
        .size:           4
        .value_kind:     by_value
    .group_segment_fixed_size: 0
    .kernarg_segment_align: 8
    .kernarg_segment_size: 92
    .language:       OpenCL C
    .language_version:
      - 2
      - 0
    .max_flat_workgroup_size: 512
    .name:           _ZN9rocsparseL24bsrsm_upper_large_kernelILj512ELj16ELb0EfEEviiPKiS2_PKT2_iPS3_iPiS2_S7_21rocsparse_index_base_20rocsparse_diag_type_20rocsparse_direction_
    .private_segment_fixed_size: 0
    .sgpr_count:     38
    .sgpr_spill_count: 0
    .symbol:         _ZN9rocsparseL24bsrsm_upper_large_kernelILj512ELj16ELb0EfEEviiPKiS2_PKT2_iPS3_iPiS2_S7_21rocsparse_index_base_20rocsparse_diag_type_20rocsparse_direction_.kd
    .uniform_work_group_size: 1
    .uses_dynamic_stack: false
    .vgpr_count:     14
    .vgpr_spill_count: 0
    .wavefront_size: 32
  - .args:
      - .offset:         0
        .size:           4
        .value_kind:     by_value
      - .offset:         4
        .size:           4
        .value_kind:     by_value
      - .address_space:  global
        .offset:         8
        .size:           8
        .value_kind:     global_buffer
      - .address_space:  global
        .offset:         16
        .size:           8
        .value_kind:     global_buffer
      - .address_space:  global
        .offset:         24
        .size:           8
        .value_kind:     global_buffer
      - .offset:         32
        .size:           4
        .value_kind:     by_value
      - .address_space:  global
        .offset:         40
        .size:           8
        .value_kind:     global_buffer
      - .offset:         48
        .size:           4
        .value_kind:     by_value
      - .address_space:  global
        .offset:         56
        .size:           8
        .value_kind:     global_buffer
      - .address_space:  global
        .offset:         64
        .size:           8
        .value_kind:     global_buffer
      - .address_space:  global
        .offset:         72
        .size:           8
        .value_kind:     global_buffer
      - .offset:         80
        .size:           4
        .value_kind:     by_value
      - .offset:         84
        .size:           4
        .value_kind:     by_value
      - .offset:         88
        .size:           4
        .value_kind:     by_value
    .group_segment_fixed_size: 0
    .kernarg_segment_align: 8
    .kernarg_segment_size: 92
    .language:       OpenCL C
    .language_version:
      - 2
      - 0
    .max_flat_workgroup_size: 512
    .name:           _ZN9rocsparseL24bsrsm_lower_large_kernelILj512ELj16ELb0EfEEviiPKiS2_PKT2_iPS3_iPiS2_S7_21rocsparse_index_base_20rocsparse_diag_type_20rocsparse_direction_
    .private_segment_fixed_size: 0
    .sgpr_count:     38
    .sgpr_spill_count: 0
    .symbol:         _ZN9rocsparseL24bsrsm_lower_large_kernelILj512ELj16ELb0EfEEviiPKiS2_PKT2_iPS3_iPiS2_S7_21rocsparse_index_base_20rocsparse_diag_type_20rocsparse_direction_.kd
    .uniform_work_group_size: 1
    .uses_dynamic_stack: false
    .vgpr_count:     14
    .vgpr_spill_count: 0
    .wavefront_size: 32
  - .args:
      - .offset:         0
        .size:           4
        .value_kind:     by_value
      - .offset:         4
        .size:           4
        .value_kind:     by_value
      - .address_space:  global
        .offset:         8
        .size:           8
        .value_kind:     global_buffer
      - .address_space:  global
        .offset:         16
        .size:           8
        .value_kind:     global_buffer
      - .address_space:  global
        .offset:         24
        .size:           8
        .value_kind:     global_buffer
      - .offset:         32
        .size:           4
        .value_kind:     by_value
      - .address_space:  global
        .offset:         40
        .size:           8
        .value_kind:     global_buffer
      - .offset:         48
        .size:           4
        .value_kind:     by_value
      - .address_space:  global
        .offset:         56
        .size:           8
        .value_kind:     global_buffer
      - .address_space:  global
        .offset:         64
        .size:           8
        .value_kind:     global_buffer
      - .address_space:  global
        .offset:         72
        .size:           8
        .value_kind:     global_buffer
      - .offset:         80
        .size:           4
        .value_kind:     by_value
      - .offset:         84
        .size:           4
        .value_kind:     by_value
      - .offset:         88
        .size:           4
        .value_kind:     by_value
    .group_segment_fixed_size: 0
    .kernarg_segment_align: 8
    .kernarg_segment_size: 92
    .language:       OpenCL C
    .language_version:
      - 2
      - 0
    .max_flat_workgroup_size: 1024
    .name:           _ZN9rocsparseL24bsrsm_upper_large_kernelILj1024ELj16ELb0EfEEviiPKiS2_PKT2_iPS3_iPiS2_S7_21rocsparse_index_base_20rocsparse_diag_type_20rocsparse_direction_
    .private_segment_fixed_size: 0
    .sgpr_count:     38
    .sgpr_spill_count: 0
    .symbol:         _ZN9rocsparseL24bsrsm_upper_large_kernelILj1024ELj16ELb0EfEEviiPKiS2_PKT2_iPS3_iPiS2_S7_21rocsparse_index_base_20rocsparse_diag_type_20rocsparse_direction_.kd
    .uniform_work_group_size: 1
    .uses_dynamic_stack: false
    .vgpr_count:     15
    .vgpr_spill_count: 0
    .wavefront_size: 32
  - .args:
      - .offset:         0
        .size:           4
        .value_kind:     by_value
      - .offset:         4
        .size:           4
        .value_kind:     by_value
      - .address_space:  global
        .offset:         8
        .size:           8
        .value_kind:     global_buffer
      - .address_space:  global
        .offset:         16
        .size:           8
        .value_kind:     global_buffer
      - .address_space:  global
        .offset:         24
        .size:           8
        .value_kind:     global_buffer
      - .offset:         32
        .size:           4
        .value_kind:     by_value
      - .address_space:  global
        .offset:         40
        .size:           8
        .value_kind:     global_buffer
      - .offset:         48
        .size:           4
        .value_kind:     by_value
      - .address_space:  global
        .offset:         56
        .size:           8
        .value_kind:     global_buffer
      - .address_space:  global
        .offset:         64
        .size:           8
        .value_kind:     global_buffer
      - .address_space:  global
        .offset:         72
        .size:           8
        .value_kind:     global_buffer
      - .offset:         80
        .size:           4
        .value_kind:     by_value
      - .offset:         84
        .size:           4
        .value_kind:     by_value
      - .offset:         88
        .size:           4
        .value_kind:     by_value
    .group_segment_fixed_size: 0
    .kernarg_segment_align: 8
    .kernarg_segment_size: 92
    .language:       OpenCL C
    .language_version:
      - 2
      - 0
    .max_flat_workgroup_size: 1024
    .name:           _ZN9rocsparseL24bsrsm_lower_large_kernelILj1024ELj16ELb0EfEEviiPKiS2_PKT2_iPS3_iPiS2_S7_21rocsparse_index_base_20rocsparse_diag_type_20rocsparse_direction_
    .private_segment_fixed_size: 0
    .sgpr_count:     38
    .sgpr_spill_count: 0
    .symbol:         _ZN9rocsparseL24bsrsm_lower_large_kernelILj1024ELj16ELb0EfEEviiPKiS2_PKT2_iPS3_iPiS2_S7_21rocsparse_index_base_20rocsparse_diag_type_20rocsparse_direction_.kd
    .uniform_work_group_size: 1
    .uses_dynamic_stack: false
    .vgpr_count:     15
    .vgpr_spill_count: 0
    .wavefront_size: 32
  - .args:
      - .offset:         0
        .size:           4
        .value_kind:     by_value
      - .offset:         4
        .size:           4
        .value_kind:     by_value
      - .offset:         8
        .size:           8
        .value_kind:     by_value
      - .address_space:  global
        .offset:         16
        .size:           8
        .value_kind:     global_buffer
      - .offset:         24
        .size:           8
        .value_kind:     by_value
      - .address_space:  global
        .offset:         32
        .size:           8
        .value_kind:     global_buffer
      - .offset:         40
        .size:           8
        .value_kind:     by_value
      - .offset:         48
        .size:           1
        .value_kind:     by_value
      - .offset:         56
        .size:           4
        .value_kind:     hidden_block_count_x
      - .offset:         60
        .size:           4
        .value_kind:     hidden_block_count_y
      - .offset:         64
        .size:           4
        .value_kind:     hidden_block_count_z
      - .offset:         68
        .size:           2
        .value_kind:     hidden_group_size_x
      - .offset:         70
        .size:           2
        .value_kind:     hidden_group_size_y
      - .offset:         72
        .size:           2
        .value_kind:     hidden_group_size_z
      - .offset:         74
        .size:           2
        .value_kind:     hidden_remainder_x
      - .offset:         76
        .size:           2
        .value_kind:     hidden_remainder_y
      - .offset:         78
        .size:           2
        .value_kind:     hidden_remainder_z
      - .offset:         96
        .size:           8
        .value_kind:     hidden_global_offset_x
      - .offset:         104
        .size:           8
        .value_kind:     hidden_global_offset_y
      - .offset:         112
        .size:           8
        .value_kind:     hidden_global_offset_z
      - .offset:         120
        .size:           2
        .value_kind:     hidden_grid_dims
    .group_segment_fixed_size: 0
    .kernarg_segment_align: 8
    .kernarg_segment_size: 312
    .language:       OpenCL C
    .language_version:
      - 2
      - 0
    .max_flat_workgroup_size: 1024
    .name:           _ZN9rocsparseL16bsrsm_copy_scaleILj1024EdEEviiNS_24const_host_device_scalarIT0_EEPKS2_lPS2_lb
    .private_segment_fixed_size: 0
    .sgpr_count:     16
    .sgpr_spill_count: 0
    .symbol:         _ZN9rocsparseL16bsrsm_copy_scaleILj1024EdEEviiNS_24const_host_device_scalarIT0_EEPKS2_lPS2_lb.kd
    .uniform_work_group_size: 1
    .uses_dynamic_stack: false
    .vgpr_count:     8
    .vgpr_spill_count: 0
    .wavefront_size: 32
  - .args:
      - .offset:         0
        .size:           4
        .value_kind:     by_value
      - .offset:         4
        .size:           4
        .value_kind:     by_value
      - .actual_access:  read_only
        .address_space:  global
        .offset:         8
        .size:           8
        .value_kind:     global_buffer
      - .actual_access:  read_only
        .address_space:  global
        .offset:         16
        .size:           8
        .value_kind:     global_buffer
      - .actual_access:  write_only
        .address_space:  global
        .offset:         24
        .size:           8
        .value_kind:     global_buffer
      - .offset:         32
        .size:           4
        .value_kind:     by_value
    .group_segment_fixed_size: 0
    .kernarg_segment_align: 8
    .kernarg_segment_size: 36
    .language:       OpenCL C
    .language_version:
      - 2
      - 0
    .max_flat_workgroup_size: 256
    .name:           _ZN9rocsparseL10bsr_gatherILj4ELj64ELj2EidEEv20rocsparse_direction_T2_PKS2_PKT3_PS5_S2_
    .private_segment_fixed_size: 0
    .sgpr_count:     13
    .sgpr_spill_count: 0
    .symbol:         _ZN9rocsparseL10bsr_gatherILj4ELj64ELj2EidEEv20rocsparse_direction_T2_PKS2_PKT3_PS5_S2_.kd
    .uniform_work_group_size: 1
    .uses_dynamic_stack: false
    .vgpr_count:     10
    .vgpr_spill_count: 0
    .wavefront_size: 32
  - .args:
      - .offset:         0
        .size:           4
        .value_kind:     by_value
      - .offset:         4
        .size:           4
        .value_kind:     by_value
      - .actual_access:  read_only
        .address_space:  global
        .offset:         8
        .size:           8
        .value_kind:     global_buffer
      - .actual_access:  read_only
        .address_space:  global
        .offset:         16
        .size:           8
        .value_kind:     global_buffer
      - .actual_access:  write_only
        .address_space:  global
        .offset:         24
        .size:           8
        .value_kind:     global_buffer
      - .offset:         32
        .size:           4
        .value_kind:     by_value
    .group_segment_fixed_size: 0
    .kernarg_segment_align: 8
    .kernarg_segment_size: 36
    .language:       OpenCL C
    .language_version:
      - 2
      - 0
    .max_flat_workgroup_size: 256
    .name:           _ZN9rocsparseL10bsr_gatherILj16ELj16ELj4EidEEv20rocsparse_direction_T2_PKS2_PKT3_PS5_S2_
    .private_segment_fixed_size: 0
    .sgpr_count:     13
    .sgpr_spill_count: 0
    .symbol:         _ZN9rocsparseL10bsr_gatherILj16ELj16ELj4EidEEv20rocsparse_direction_T2_PKS2_PKT3_PS5_S2_.kd
    .uniform_work_group_size: 1
    .uses_dynamic_stack: false
    .vgpr_count:     10
    .vgpr_spill_count: 0
    .wavefront_size: 32
  - .args:
      - .offset:         0
        .size:           4
        .value_kind:     by_value
      - .offset:         4
        .size:           4
        .value_kind:     by_value
      - .actual_access:  read_only
        .address_space:  global
        .offset:         8
        .size:           8
        .value_kind:     global_buffer
      - .actual_access:  read_only
        .address_space:  global
        .offset:         16
        .size:           8
        .value_kind:     global_buffer
      - .actual_access:  write_only
        .address_space:  global
        .offset:         24
        .size:           8
        .value_kind:     global_buffer
      - .offset:         32
        .size:           4
        .value_kind:     by_value
    .group_segment_fixed_size: 0
    .kernarg_segment_align: 8
    .kernarg_segment_size: 36
    .language:       OpenCL C
    .language_version:
      - 2
      - 0
    .max_flat_workgroup_size: 256
    .name:           _ZN9rocsparseL10bsr_gatherILj64ELj4ELj8EidEEv20rocsparse_direction_T2_PKS2_PKT3_PS5_S2_
    .private_segment_fixed_size: 0
    .sgpr_count:     13
    .sgpr_spill_count: 0
    .symbol:         _ZN9rocsparseL10bsr_gatherILj64ELj4ELj8EidEEv20rocsparse_direction_T2_PKS2_PKT3_PS5_S2_.kd
    .uniform_work_group_size: 1
    .uses_dynamic_stack: false
    .vgpr_count:     10
    .vgpr_spill_count: 0
    .wavefront_size: 32
  - .args:
      - .offset:         0
        .size:           4
        .value_kind:     by_value
      - .offset:         4
        .size:           4
        .value_kind:     by_value
      - .address_space:  global
        .offset:         8
        .size:           8
        .value_kind:     global_buffer
      - .address_space:  global
        .offset:         16
        .size:           8
        .value_kind:     global_buffer
      - .address_space:  global
        .offset:         24
        .size:           8
        .value_kind:     global_buffer
      - .offset:         32
        .size:           4
        .value_kind:     by_value
      - .address_space:  global
        .offset:         40
        .size:           8
        .value_kind:     global_buffer
      - .offset:         48
        .size:           4
        .value_kind:     by_value
      - .address_space:  global
        .offset:         56
        .size:           8
        .value_kind:     global_buffer
      - .address_space:  global
        .offset:         64
        .size:           8
        .value_kind:     global_buffer
      - .address_space:  global
        .offset:         72
        .size:           8
        .value_kind:     global_buffer
      - .offset:         80
        .size:           4
        .value_kind:     by_value
      - .offset:         84
        .size:           4
        .value_kind:     by_value
      - .offset:         88
        .size:           4
        .value_kind:     by_value
    .group_segment_fixed_size: 0
    .kernarg_segment_align: 8
    .kernarg_segment_size: 92
    .language:       OpenCL C
    .language_version:
      - 2
      - 0
    .max_flat_workgroup_size: 256
    .name:           _ZN9rocsparseL24bsrsm_upper_large_kernelILj256ELj16ELb1EdEEviiPKiS2_PKT2_iPS3_iPiS2_S7_21rocsparse_index_base_20rocsparse_diag_type_20rocsparse_direction_
    .private_segment_fixed_size: 0
    .sgpr_count:     38
    .sgpr_spill_count: 0
    .symbol:         _ZN9rocsparseL24bsrsm_upper_large_kernelILj256ELj16ELb1EdEEviiPKiS2_PKT2_iPS3_iPiS2_S7_21rocsparse_index_base_20rocsparse_diag_type_20rocsparse_direction_.kd
    .uniform_work_group_size: 1
    .uses_dynamic_stack: false
    .vgpr_count:     18
    .vgpr_spill_count: 0
    .wavefront_size: 32
  - .args:
      - .offset:         0
        .size:           4
        .value_kind:     by_value
      - .offset:         4
        .size:           4
        .value_kind:     by_value
      - .address_space:  global
        .offset:         8
        .size:           8
        .value_kind:     global_buffer
      - .address_space:  global
        .offset:         16
        .size:           8
        .value_kind:     global_buffer
      - .address_space:  global
        .offset:         24
        .size:           8
        .value_kind:     global_buffer
      - .offset:         32
        .size:           4
        .value_kind:     by_value
      - .address_space:  global
        .offset:         40
        .size:           8
        .value_kind:     global_buffer
      - .offset:         48
        .size:           4
        .value_kind:     by_value
      - .address_space:  global
        .offset:         56
        .size:           8
        .value_kind:     global_buffer
      - .address_space:  global
        .offset:         64
        .size:           8
        .value_kind:     global_buffer
      - .address_space:  global
        .offset:         72
        .size:           8
        .value_kind:     global_buffer
      - .offset:         80
        .size:           4
        .value_kind:     by_value
      - .offset:         84
        .size:           4
        .value_kind:     by_value
      - .offset:         88
        .size:           4
        .value_kind:     by_value
    .group_segment_fixed_size: 0
    .kernarg_segment_align: 8
    .kernarg_segment_size: 92
    .language:       OpenCL C
    .language_version:
      - 2
      - 0
    .max_flat_workgroup_size: 256
    .name:           _ZN9rocsparseL24bsrsm_lower_large_kernelILj256ELj16ELb1EdEEviiPKiS2_PKT2_iPS3_iPiS2_S7_21rocsparse_index_base_20rocsparse_diag_type_20rocsparse_direction_
    .private_segment_fixed_size: 0
    .sgpr_count:     38
    .sgpr_spill_count: 0
    .symbol:         _ZN9rocsparseL24bsrsm_lower_large_kernelILj256ELj16ELb1EdEEviiPKiS2_PKT2_iPS3_iPiS2_S7_21rocsparse_index_base_20rocsparse_diag_type_20rocsparse_direction_.kd
    .uniform_work_group_size: 1
    .uses_dynamic_stack: false
    .vgpr_count:     18
    .vgpr_spill_count: 0
    .wavefront_size: 32
  - .args:
      - .offset:         0
        .size:           4
        .value_kind:     by_value
      - .offset:         4
        .size:           4
        .value_kind:     by_value
      - .address_space:  global
        .offset:         8
        .size:           8
        .value_kind:     global_buffer
      - .address_space:  global
        .offset:         16
        .size:           8
        .value_kind:     global_buffer
      - .address_space:  global
        .offset:         24
        .size:           8
        .value_kind:     global_buffer
      - .offset:         32
        .size:           4
        .value_kind:     by_value
      - .address_space:  global
        .offset:         40
        .size:           8
        .value_kind:     global_buffer
      - .offset:         48
        .size:           4
        .value_kind:     by_value
      - .address_space:  global
        .offset:         56
        .size:           8
        .value_kind:     global_buffer
      - .address_space:  global
        .offset:         64
        .size:           8
        .value_kind:     global_buffer
      - .address_space:  global
        .offset:         72
        .size:           8
        .value_kind:     global_buffer
      - .offset:         80
        .size:           4
        .value_kind:     by_value
      - .offset:         84
        .size:           4
        .value_kind:     by_value
      - .offset:         88
        .size:           4
        .value_kind:     by_value
    .group_segment_fixed_size: 0
    .kernarg_segment_align: 8
    .kernarg_segment_size: 92
    .language:       OpenCL C
    .language_version:
      - 2
      - 0
    .max_flat_workgroup_size: 64
    .name:           _ZN9rocsparseL24bsrsm_upper_large_kernelILj64ELj16ELb0EdEEviiPKiS2_PKT2_iPS3_iPiS2_S7_21rocsparse_index_base_20rocsparse_diag_type_20rocsparse_direction_
    .private_segment_fixed_size: 0
    .sgpr_count:     38
    .sgpr_spill_count: 0
    .symbol:         _ZN9rocsparseL24bsrsm_upper_large_kernelILj64ELj16ELb0EdEEviiPKiS2_PKT2_iPS3_iPiS2_S7_21rocsparse_index_base_20rocsparse_diag_type_20rocsparse_direction_.kd
    .uniform_work_group_size: 1
    .uses_dynamic_stack: false
    .vgpr_count:     18
    .vgpr_spill_count: 0
    .wavefront_size: 32
  - .args:
      - .offset:         0
        .size:           4
        .value_kind:     by_value
      - .offset:         4
        .size:           4
        .value_kind:     by_value
      - .address_space:  global
        .offset:         8
        .size:           8
        .value_kind:     global_buffer
      - .address_space:  global
        .offset:         16
        .size:           8
        .value_kind:     global_buffer
      - .address_space:  global
        .offset:         24
        .size:           8
        .value_kind:     global_buffer
      - .offset:         32
        .size:           4
        .value_kind:     by_value
      - .address_space:  global
        .offset:         40
        .size:           8
        .value_kind:     global_buffer
      - .offset:         48
        .size:           4
        .value_kind:     by_value
      - .address_space:  global
        .offset:         56
        .size:           8
        .value_kind:     global_buffer
      - .address_space:  global
        .offset:         64
        .size:           8
        .value_kind:     global_buffer
      - .address_space:  global
        .offset:         72
        .size:           8
        .value_kind:     global_buffer
      - .offset:         80
        .size:           4
        .value_kind:     by_value
      - .offset:         84
        .size:           4
        .value_kind:     by_value
      - .offset:         88
        .size:           4
        .value_kind:     by_value
    .group_segment_fixed_size: 0
    .kernarg_segment_align: 8
    .kernarg_segment_size: 92
    .language:       OpenCL C
    .language_version:
      - 2
      - 0
    .max_flat_workgroup_size: 64
    .name:           _ZN9rocsparseL24bsrsm_lower_large_kernelILj64ELj16ELb0EdEEviiPKiS2_PKT2_iPS3_iPiS2_S7_21rocsparse_index_base_20rocsparse_diag_type_20rocsparse_direction_
    .private_segment_fixed_size: 0
    .sgpr_count:     38
    .sgpr_spill_count: 0
    .symbol:         _ZN9rocsparseL24bsrsm_lower_large_kernelILj64ELj16ELb0EdEEviiPKiS2_PKT2_iPS3_iPiS2_S7_21rocsparse_index_base_20rocsparse_diag_type_20rocsparse_direction_.kd
    .uniform_work_group_size: 1
    .uses_dynamic_stack: false
    .vgpr_count:     18
    .vgpr_spill_count: 0
    .wavefront_size: 32
  - .args:
      - .offset:         0
        .size:           4
        .value_kind:     by_value
      - .offset:         4
        .size:           4
        .value_kind:     by_value
      - .address_space:  global
        .offset:         8
        .size:           8
        .value_kind:     global_buffer
      - .address_space:  global
        .offset:         16
        .size:           8
        .value_kind:     global_buffer
      - .address_space:  global
        .offset:         24
        .size:           8
        .value_kind:     global_buffer
      - .offset:         32
        .size:           4
        .value_kind:     by_value
      - .address_space:  global
        .offset:         40
        .size:           8
        .value_kind:     global_buffer
      - .offset:         48
        .size:           4
        .value_kind:     by_value
      - .address_space:  global
        .offset:         56
        .size:           8
        .value_kind:     global_buffer
      - .address_space:  global
        .offset:         64
        .size:           8
        .value_kind:     global_buffer
      - .address_space:  global
        .offset:         72
        .size:           8
        .value_kind:     global_buffer
      - .offset:         80
        .size:           4
        .value_kind:     by_value
      - .offset:         84
        .size:           4
        .value_kind:     by_value
      - .offset:         88
        .size:           4
        .value_kind:     by_value
    .group_segment_fixed_size: 0
    .kernarg_segment_align: 8
    .kernarg_segment_size: 92
    .language:       OpenCL C
    .language_version:
      - 2
      - 0
    .max_flat_workgroup_size: 128
    .name:           _ZN9rocsparseL24bsrsm_upper_large_kernelILj128ELj16ELb0EdEEviiPKiS2_PKT2_iPS3_iPiS2_S7_21rocsparse_index_base_20rocsparse_diag_type_20rocsparse_direction_
    .private_segment_fixed_size: 0
    .sgpr_count:     38
    .sgpr_spill_count: 0
    .symbol:         _ZN9rocsparseL24bsrsm_upper_large_kernelILj128ELj16ELb0EdEEviiPKiS2_PKT2_iPS3_iPiS2_S7_21rocsparse_index_base_20rocsparse_diag_type_20rocsparse_direction_.kd
    .uniform_work_group_size: 1
    .uses_dynamic_stack: false
    .vgpr_count:     18
    .vgpr_spill_count: 0
    .wavefront_size: 32
  - .args:
      - .offset:         0
        .size:           4
        .value_kind:     by_value
      - .offset:         4
        .size:           4
        .value_kind:     by_value
      - .address_space:  global
        .offset:         8
        .size:           8
        .value_kind:     global_buffer
      - .address_space:  global
        .offset:         16
        .size:           8
        .value_kind:     global_buffer
      - .address_space:  global
        .offset:         24
        .size:           8
        .value_kind:     global_buffer
      - .offset:         32
        .size:           4
        .value_kind:     by_value
      - .address_space:  global
        .offset:         40
        .size:           8
        .value_kind:     global_buffer
      - .offset:         48
        .size:           4
        .value_kind:     by_value
      - .address_space:  global
        .offset:         56
        .size:           8
        .value_kind:     global_buffer
      - .address_space:  global
        .offset:         64
        .size:           8
        .value_kind:     global_buffer
      - .address_space:  global
        .offset:         72
        .size:           8
        .value_kind:     global_buffer
      - .offset:         80
        .size:           4
        .value_kind:     by_value
      - .offset:         84
        .size:           4
        .value_kind:     by_value
      - .offset:         88
        .size:           4
        .value_kind:     by_value
    .group_segment_fixed_size: 0
    .kernarg_segment_align: 8
    .kernarg_segment_size: 92
    .language:       OpenCL C
    .language_version:
      - 2
      - 0
    .max_flat_workgroup_size: 128
    .name:           _ZN9rocsparseL24bsrsm_lower_large_kernelILj128ELj16ELb0EdEEviiPKiS2_PKT2_iPS3_iPiS2_S7_21rocsparse_index_base_20rocsparse_diag_type_20rocsparse_direction_
    .private_segment_fixed_size: 0
    .sgpr_count:     38
    .sgpr_spill_count: 0
    .symbol:         _ZN9rocsparseL24bsrsm_lower_large_kernelILj128ELj16ELb0EdEEviiPKiS2_PKT2_iPS3_iPiS2_S7_21rocsparse_index_base_20rocsparse_diag_type_20rocsparse_direction_.kd
    .uniform_work_group_size: 1
    .uses_dynamic_stack: false
    .vgpr_count:     18
    .vgpr_spill_count: 0
    .wavefront_size: 32
  - .args:
      - .offset:         0
        .size:           4
        .value_kind:     by_value
      - .offset:         4
        .size:           4
        .value_kind:     by_value
      - .address_space:  global
        .offset:         8
        .size:           8
        .value_kind:     global_buffer
      - .address_space:  global
        .offset:         16
        .size:           8
        .value_kind:     global_buffer
      - .address_space:  global
        .offset:         24
        .size:           8
        .value_kind:     global_buffer
      - .offset:         32
        .size:           4
        .value_kind:     by_value
      - .address_space:  global
        .offset:         40
        .size:           8
        .value_kind:     global_buffer
      - .offset:         48
        .size:           4
        .value_kind:     by_value
      - .address_space:  global
        .offset:         56
        .size:           8
        .value_kind:     global_buffer
      - .address_space:  global
        .offset:         64
        .size:           8
        .value_kind:     global_buffer
      - .address_space:  global
        .offset:         72
        .size:           8
        .value_kind:     global_buffer
      - .offset:         80
        .size:           4
        .value_kind:     by_value
      - .offset:         84
        .size:           4
        .value_kind:     by_value
      - .offset:         88
        .size:           4
        .value_kind:     by_value
    .group_segment_fixed_size: 0
    .kernarg_segment_align: 8
    .kernarg_segment_size: 92
    .language:       OpenCL C
    .language_version:
      - 2
      - 0
    .max_flat_workgroup_size: 256
    .name:           _ZN9rocsparseL24bsrsm_upper_large_kernelILj256ELj16ELb0EdEEviiPKiS2_PKT2_iPS3_iPiS2_S7_21rocsparse_index_base_20rocsparse_diag_type_20rocsparse_direction_
    .private_segment_fixed_size: 0
    .sgpr_count:     38
    .sgpr_spill_count: 0
    .symbol:         _ZN9rocsparseL24bsrsm_upper_large_kernelILj256ELj16ELb0EdEEviiPKiS2_PKT2_iPS3_iPiS2_S7_21rocsparse_index_base_20rocsparse_diag_type_20rocsparse_direction_.kd
    .uniform_work_group_size: 1
    .uses_dynamic_stack: false
    .vgpr_count:     18
    .vgpr_spill_count: 0
    .wavefront_size: 32
  - .args:
      - .offset:         0
        .size:           4
        .value_kind:     by_value
      - .offset:         4
        .size:           4
        .value_kind:     by_value
      - .address_space:  global
        .offset:         8
        .size:           8
        .value_kind:     global_buffer
      - .address_space:  global
        .offset:         16
        .size:           8
        .value_kind:     global_buffer
      - .address_space:  global
        .offset:         24
        .size:           8
        .value_kind:     global_buffer
      - .offset:         32
        .size:           4
        .value_kind:     by_value
      - .address_space:  global
        .offset:         40
        .size:           8
        .value_kind:     global_buffer
      - .offset:         48
        .size:           4
        .value_kind:     by_value
      - .address_space:  global
        .offset:         56
        .size:           8
        .value_kind:     global_buffer
      - .address_space:  global
        .offset:         64
        .size:           8
        .value_kind:     global_buffer
      - .address_space:  global
        .offset:         72
        .size:           8
        .value_kind:     global_buffer
      - .offset:         80
        .size:           4
        .value_kind:     by_value
      - .offset:         84
        .size:           4
        .value_kind:     by_value
      - .offset:         88
        .size:           4
        .value_kind:     by_value
    .group_segment_fixed_size: 0
    .kernarg_segment_align: 8
    .kernarg_segment_size: 92
    .language:       OpenCL C
    .language_version:
      - 2
      - 0
    .max_flat_workgroup_size: 256
    .name:           _ZN9rocsparseL24bsrsm_lower_large_kernelILj256ELj16ELb0EdEEviiPKiS2_PKT2_iPS3_iPiS2_S7_21rocsparse_index_base_20rocsparse_diag_type_20rocsparse_direction_
    .private_segment_fixed_size: 0
    .sgpr_count:     38
    .sgpr_spill_count: 0
    .symbol:         _ZN9rocsparseL24bsrsm_lower_large_kernelILj256ELj16ELb0EdEEviiPKiS2_PKT2_iPS3_iPiS2_S7_21rocsparse_index_base_20rocsparse_diag_type_20rocsparse_direction_.kd
    .uniform_work_group_size: 1
    .uses_dynamic_stack: false
    .vgpr_count:     18
    .vgpr_spill_count: 0
    .wavefront_size: 32
  - .args:
      - .offset:         0
        .size:           4
        .value_kind:     by_value
      - .offset:         4
        .size:           4
        .value_kind:     by_value
      - .address_space:  global
        .offset:         8
        .size:           8
        .value_kind:     global_buffer
      - .address_space:  global
        .offset:         16
        .size:           8
        .value_kind:     global_buffer
      - .address_space:  global
        .offset:         24
        .size:           8
        .value_kind:     global_buffer
      - .offset:         32
        .size:           4
        .value_kind:     by_value
      - .address_space:  global
        .offset:         40
        .size:           8
        .value_kind:     global_buffer
      - .offset:         48
        .size:           4
        .value_kind:     by_value
      - .address_space:  global
        .offset:         56
        .size:           8
        .value_kind:     global_buffer
      - .address_space:  global
        .offset:         64
        .size:           8
        .value_kind:     global_buffer
      - .address_space:  global
        .offset:         72
        .size:           8
        .value_kind:     global_buffer
      - .offset:         80
        .size:           4
        .value_kind:     by_value
      - .offset:         84
        .size:           4
        .value_kind:     by_value
      - .offset:         88
        .size:           4
        .value_kind:     by_value
    .group_segment_fixed_size: 0
    .kernarg_segment_align: 8
    .kernarg_segment_size: 92
    .language:       OpenCL C
    .language_version:
      - 2
      - 0
    .max_flat_workgroup_size: 512
    .name:           _ZN9rocsparseL24bsrsm_upper_large_kernelILj512ELj16ELb0EdEEviiPKiS2_PKT2_iPS3_iPiS2_S7_21rocsparse_index_base_20rocsparse_diag_type_20rocsparse_direction_
    .private_segment_fixed_size: 0
    .sgpr_count:     38
    .sgpr_spill_count: 0
    .symbol:         _ZN9rocsparseL24bsrsm_upper_large_kernelILj512ELj16ELb0EdEEviiPKiS2_PKT2_iPS3_iPiS2_S7_21rocsparse_index_base_20rocsparse_diag_type_20rocsparse_direction_.kd
    .uniform_work_group_size: 1
    .uses_dynamic_stack: false
    .vgpr_count:     18
    .vgpr_spill_count: 0
    .wavefront_size: 32
  - .args:
      - .offset:         0
        .size:           4
        .value_kind:     by_value
      - .offset:         4
        .size:           4
        .value_kind:     by_value
      - .address_space:  global
        .offset:         8
        .size:           8
        .value_kind:     global_buffer
      - .address_space:  global
        .offset:         16
        .size:           8
        .value_kind:     global_buffer
      - .address_space:  global
        .offset:         24
        .size:           8
        .value_kind:     global_buffer
      - .offset:         32
        .size:           4
        .value_kind:     by_value
      - .address_space:  global
        .offset:         40
        .size:           8
        .value_kind:     global_buffer
      - .offset:         48
        .size:           4
        .value_kind:     by_value
      - .address_space:  global
        .offset:         56
        .size:           8
        .value_kind:     global_buffer
      - .address_space:  global
        .offset:         64
        .size:           8
        .value_kind:     global_buffer
      - .address_space:  global
        .offset:         72
        .size:           8
        .value_kind:     global_buffer
      - .offset:         80
        .size:           4
        .value_kind:     by_value
      - .offset:         84
        .size:           4
        .value_kind:     by_value
      - .offset:         88
        .size:           4
        .value_kind:     by_value
    .group_segment_fixed_size: 0
    .kernarg_segment_align: 8
    .kernarg_segment_size: 92
    .language:       OpenCL C
    .language_version:
      - 2
      - 0
    .max_flat_workgroup_size: 512
    .name:           _ZN9rocsparseL24bsrsm_lower_large_kernelILj512ELj16ELb0EdEEviiPKiS2_PKT2_iPS3_iPiS2_S7_21rocsparse_index_base_20rocsparse_diag_type_20rocsparse_direction_
    .private_segment_fixed_size: 0
    .sgpr_count:     38
    .sgpr_spill_count: 0
    .symbol:         _ZN9rocsparseL24bsrsm_lower_large_kernelILj512ELj16ELb0EdEEviiPKiS2_PKT2_iPS3_iPiS2_S7_21rocsparse_index_base_20rocsparse_diag_type_20rocsparse_direction_.kd
    .uniform_work_group_size: 1
    .uses_dynamic_stack: false
    .vgpr_count:     18
    .vgpr_spill_count: 0
    .wavefront_size: 32
  - .args:
      - .offset:         0
        .size:           4
        .value_kind:     by_value
      - .offset:         4
        .size:           4
        .value_kind:     by_value
      - .address_space:  global
        .offset:         8
        .size:           8
        .value_kind:     global_buffer
      - .address_space:  global
        .offset:         16
        .size:           8
        .value_kind:     global_buffer
      - .address_space:  global
        .offset:         24
        .size:           8
        .value_kind:     global_buffer
      - .offset:         32
        .size:           4
        .value_kind:     by_value
      - .address_space:  global
        .offset:         40
        .size:           8
        .value_kind:     global_buffer
      - .offset:         48
        .size:           4
        .value_kind:     by_value
      - .address_space:  global
        .offset:         56
        .size:           8
        .value_kind:     global_buffer
      - .address_space:  global
        .offset:         64
        .size:           8
        .value_kind:     global_buffer
      - .address_space:  global
        .offset:         72
        .size:           8
        .value_kind:     global_buffer
      - .offset:         80
        .size:           4
        .value_kind:     by_value
      - .offset:         84
        .size:           4
        .value_kind:     by_value
      - .offset:         88
        .size:           4
        .value_kind:     by_value
    .group_segment_fixed_size: 0
    .kernarg_segment_align: 8
    .kernarg_segment_size: 92
    .language:       OpenCL C
    .language_version:
      - 2
      - 0
    .max_flat_workgroup_size: 1024
    .name:           _ZN9rocsparseL24bsrsm_upper_large_kernelILj1024ELj16ELb0EdEEviiPKiS2_PKT2_iPS3_iPiS2_S7_21rocsparse_index_base_20rocsparse_diag_type_20rocsparse_direction_
    .private_segment_fixed_size: 0
    .sgpr_count:     38
    .sgpr_spill_count: 0
    .symbol:         _ZN9rocsparseL24bsrsm_upper_large_kernelILj1024ELj16ELb0EdEEviiPKiS2_PKT2_iPS3_iPiS2_S7_21rocsparse_index_base_20rocsparse_diag_type_20rocsparse_direction_.kd
    .uniform_work_group_size: 1
    .uses_dynamic_stack: false
    .vgpr_count:     18
    .vgpr_spill_count: 0
    .wavefront_size: 32
  - .args:
      - .offset:         0
        .size:           4
        .value_kind:     by_value
      - .offset:         4
        .size:           4
        .value_kind:     by_value
      - .address_space:  global
        .offset:         8
        .size:           8
        .value_kind:     global_buffer
      - .address_space:  global
        .offset:         16
        .size:           8
        .value_kind:     global_buffer
      - .address_space:  global
        .offset:         24
        .size:           8
        .value_kind:     global_buffer
      - .offset:         32
        .size:           4
        .value_kind:     by_value
      - .address_space:  global
        .offset:         40
        .size:           8
        .value_kind:     global_buffer
      - .offset:         48
        .size:           4
        .value_kind:     by_value
      - .address_space:  global
        .offset:         56
        .size:           8
        .value_kind:     global_buffer
      - .address_space:  global
        .offset:         64
        .size:           8
        .value_kind:     global_buffer
      - .address_space:  global
        .offset:         72
        .size:           8
        .value_kind:     global_buffer
      - .offset:         80
        .size:           4
        .value_kind:     by_value
      - .offset:         84
        .size:           4
        .value_kind:     by_value
      - .offset:         88
        .size:           4
        .value_kind:     by_value
    .group_segment_fixed_size: 0
    .kernarg_segment_align: 8
    .kernarg_segment_size: 92
    .language:       OpenCL C
    .language_version:
      - 2
      - 0
    .max_flat_workgroup_size: 1024
    .name:           _ZN9rocsparseL24bsrsm_lower_large_kernelILj1024ELj16ELb0EdEEviiPKiS2_PKT2_iPS3_iPiS2_S7_21rocsparse_index_base_20rocsparse_diag_type_20rocsparse_direction_
    .private_segment_fixed_size: 0
    .sgpr_count:     38
    .sgpr_spill_count: 0
    .symbol:         _ZN9rocsparseL24bsrsm_lower_large_kernelILj1024ELj16ELb0EdEEviiPKiS2_PKT2_iPS3_iPiS2_S7_21rocsparse_index_base_20rocsparse_diag_type_20rocsparse_direction_.kd
    .uniform_work_group_size: 1
    .uses_dynamic_stack: false
    .vgpr_count:     18
    .vgpr_spill_count: 0
    .wavefront_size: 32
  - .args:
      - .offset:         0
        .size:           4
        .value_kind:     by_value
      - .offset:         4
        .size:           4
        .value_kind:     by_value
      - .offset:         8
        .size:           8
        .value_kind:     by_value
      - .address_space:  global
        .offset:         16
        .size:           8
        .value_kind:     global_buffer
      - .offset:         24
        .size:           8
        .value_kind:     by_value
      - .address_space:  global
        .offset:         32
        .size:           8
        .value_kind:     global_buffer
      - .offset:         40
        .size:           8
        .value_kind:     by_value
      - .offset:         48
        .size:           1
        .value_kind:     by_value
      - .offset:         56
        .size:           4
        .value_kind:     hidden_block_count_x
      - .offset:         60
        .size:           4
        .value_kind:     hidden_block_count_y
      - .offset:         64
        .size:           4
        .value_kind:     hidden_block_count_z
      - .offset:         68
        .size:           2
        .value_kind:     hidden_group_size_x
      - .offset:         70
        .size:           2
        .value_kind:     hidden_group_size_y
      - .offset:         72
        .size:           2
        .value_kind:     hidden_group_size_z
      - .offset:         74
        .size:           2
        .value_kind:     hidden_remainder_x
      - .offset:         76
        .size:           2
        .value_kind:     hidden_remainder_y
      - .offset:         78
        .size:           2
        .value_kind:     hidden_remainder_z
      - .offset:         96
        .size:           8
        .value_kind:     hidden_global_offset_x
      - .offset:         104
        .size:           8
        .value_kind:     hidden_global_offset_y
      - .offset:         112
        .size:           8
        .value_kind:     hidden_global_offset_z
      - .offset:         120
        .size:           2
        .value_kind:     hidden_grid_dims
    .group_segment_fixed_size: 0
    .kernarg_segment_align: 8
    .kernarg_segment_size: 312
    .language:       OpenCL C
    .language_version:
      - 2
      - 0
    .max_flat_workgroup_size: 1024
    .name:           _ZN9rocsparseL16bsrsm_copy_scaleILj1024E21rocsparse_complex_numIfEEEviiNS_24const_host_device_scalarIT0_EEPKS4_lPS4_lb
    .private_segment_fixed_size: 0
    .sgpr_count:     18
    .sgpr_spill_count: 0
    .symbol:         _ZN9rocsparseL16bsrsm_copy_scaleILj1024E21rocsparse_complex_numIfEEEviiNS_24const_host_device_scalarIT0_EEPKS4_lPS4_lb.kd
    .uniform_work_group_size: 1
    .uses_dynamic_stack: false
    .vgpr_count:     12
    .vgpr_spill_count: 0
    .wavefront_size: 32
  - .args:
      - .offset:         0
        .size:           4
        .value_kind:     by_value
      - .offset:         4
        .size:           4
        .value_kind:     by_value
      - .actual_access:  read_only
        .address_space:  global
        .offset:         8
        .size:           8
        .value_kind:     global_buffer
      - .actual_access:  read_only
        .address_space:  global
        .offset:         16
        .size:           8
        .value_kind:     global_buffer
      - .actual_access:  write_only
        .address_space:  global
        .offset:         24
        .size:           8
        .value_kind:     global_buffer
      - .offset:         32
        .size:           4
        .value_kind:     by_value
    .group_segment_fixed_size: 0
    .kernarg_segment_align: 8
    .kernarg_segment_size: 36
    .language:       OpenCL C
    .language_version:
      - 2
      - 0
    .max_flat_workgroup_size: 256
    .name:           _ZN9rocsparseL10bsr_gatherILj4ELj64ELj2Ei21rocsparse_complex_numIfEEEv20rocsparse_direction_T2_PKS4_PKT3_PS7_S4_
    .private_segment_fixed_size: 0
    .sgpr_count:     13
    .sgpr_spill_count: 0
    .symbol:         _ZN9rocsparseL10bsr_gatherILj4ELj64ELj2Ei21rocsparse_complex_numIfEEEv20rocsparse_direction_T2_PKS4_PKT3_PS7_S4_.kd
    .uniform_work_group_size: 1
    .uses_dynamic_stack: false
    .vgpr_count:     12
    .vgpr_spill_count: 0
    .wavefront_size: 32
  - .args:
      - .offset:         0
        .size:           4
        .value_kind:     by_value
      - .offset:         4
        .size:           4
        .value_kind:     by_value
      - .actual_access:  read_only
        .address_space:  global
        .offset:         8
        .size:           8
        .value_kind:     global_buffer
      - .actual_access:  read_only
        .address_space:  global
        .offset:         16
        .size:           8
        .value_kind:     global_buffer
      - .actual_access:  write_only
        .address_space:  global
        .offset:         24
        .size:           8
        .value_kind:     global_buffer
      - .offset:         32
        .size:           4
        .value_kind:     by_value
    .group_segment_fixed_size: 0
    .kernarg_segment_align: 8
    .kernarg_segment_size: 36
    .language:       OpenCL C
    .language_version:
      - 2
      - 0
    .max_flat_workgroup_size: 256
    .name:           _ZN9rocsparseL10bsr_gatherILj16ELj16ELj4Ei21rocsparse_complex_numIfEEEv20rocsparse_direction_T2_PKS4_PKT3_PS7_S4_
    .private_segment_fixed_size: 0
    .sgpr_count:     13
    .sgpr_spill_count: 0
    .symbol:         _ZN9rocsparseL10bsr_gatherILj16ELj16ELj4Ei21rocsparse_complex_numIfEEEv20rocsparse_direction_T2_PKS4_PKT3_PS7_S4_.kd
    .uniform_work_group_size: 1
    .uses_dynamic_stack: false
    .vgpr_count:     12
    .vgpr_spill_count: 0
    .wavefront_size: 32
  - .args:
      - .offset:         0
        .size:           4
        .value_kind:     by_value
      - .offset:         4
        .size:           4
        .value_kind:     by_value
      - .actual_access:  read_only
        .address_space:  global
        .offset:         8
        .size:           8
        .value_kind:     global_buffer
      - .actual_access:  read_only
        .address_space:  global
        .offset:         16
        .size:           8
        .value_kind:     global_buffer
      - .actual_access:  write_only
        .address_space:  global
        .offset:         24
        .size:           8
        .value_kind:     global_buffer
      - .offset:         32
        .size:           4
        .value_kind:     by_value
    .group_segment_fixed_size: 0
    .kernarg_segment_align: 8
    .kernarg_segment_size: 36
    .language:       OpenCL C
    .language_version:
      - 2
      - 0
    .max_flat_workgroup_size: 256
    .name:           _ZN9rocsparseL10bsr_gatherILj64ELj4ELj8Ei21rocsparse_complex_numIfEEEv20rocsparse_direction_T2_PKS4_PKT3_PS7_S4_
    .private_segment_fixed_size: 0
    .sgpr_count:     13
    .sgpr_spill_count: 0
    .symbol:         _ZN9rocsparseL10bsr_gatherILj64ELj4ELj8Ei21rocsparse_complex_numIfEEEv20rocsparse_direction_T2_PKS4_PKT3_PS7_S4_.kd
    .uniform_work_group_size: 1
    .uses_dynamic_stack: false
    .vgpr_count:     12
    .vgpr_spill_count: 0
    .wavefront_size: 32
  - .args:
      - .offset:         0
        .size:           4
        .value_kind:     by_value
      - .offset:         4
        .size:           4
        .value_kind:     by_value
      - .address_space:  global
        .offset:         8
        .size:           8
        .value_kind:     global_buffer
      - .address_space:  global
        .offset:         16
        .size:           8
        .value_kind:     global_buffer
      - .address_space:  global
        .offset:         24
        .size:           8
        .value_kind:     global_buffer
      - .offset:         32
        .size:           4
        .value_kind:     by_value
      - .address_space:  global
        .offset:         40
        .size:           8
        .value_kind:     global_buffer
      - .offset:         48
        .size:           4
        .value_kind:     by_value
      - .address_space:  global
        .offset:         56
        .size:           8
        .value_kind:     global_buffer
      - .address_space:  global
        .offset:         64
        .size:           8
        .value_kind:     global_buffer
      - .address_space:  global
        .offset:         72
        .size:           8
        .value_kind:     global_buffer
      - .offset:         80
        .size:           4
        .value_kind:     by_value
      - .offset:         84
        .size:           4
        .value_kind:     by_value
      - .offset:         88
        .size:           4
        .value_kind:     by_value
    .group_segment_fixed_size: 0
    .kernarg_segment_align: 8
    .kernarg_segment_size: 92
    .language:       OpenCL C
    .language_version:
      - 2
      - 0
    .max_flat_workgroup_size: 256
    .name:           _ZN9rocsparseL24bsrsm_upper_large_kernelILj256ELj16ELb1E21rocsparse_complex_numIfEEEviiPKiS4_PKT2_iPS5_iPiS4_S9_21rocsparse_index_base_20rocsparse_diag_type_20rocsparse_direction_
    .private_segment_fixed_size: 0
    .sgpr_count:     38
    .sgpr_spill_count: 0
    .symbol:         _ZN9rocsparseL24bsrsm_upper_large_kernelILj256ELj16ELb1E21rocsparse_complex_numIfEEEviiPKiS4_PKT2_iPS5_iPiS4_S9_21rocsparse_index_base_20rocsparse_diag_type_20rocsparse_direction_.kd
    .uniform_work_group_size: 1
    .uses_dynamic_stack: false
    .vgpr_count:     18
    .vgpr_spill_count: 0
    .wavefront_size: 32
  - .args:
      - .offset:         0
        .size:           4
        .value_kind:     by_value
      - .offset:         4
        .size:           4
        .value_kind:     by_value
      - .address_space:  global
        .offset:         8
        .size:           8
        .value_kind:     global_buffer
      - .address_space:  global
        .offset:         16
        .size:           8
        .value_kind:     global_buffer
      - .address_space:  global
        .offset:         24
        .size:           8
        .value_kind:     global_buffer
      - .offset:         32
        .size:           4
        .value_kind:     by_value
      - .address_space:  global
        .offset:         40
        .size:           8
        .value_kind:     global_buffer
      - .offset:         48
        .size:           4
        .value_kind:     by_value
      - .address_space:  global
        .offset:         56
        .size:           8
        .value_kind:     global_buffer
      - .address_space:  global
        .offset:         64
        .size:           8
        .value_kind:     global_buffer
      - .address_space:  global
        .offset:         72
        .size:           8
        .value_kind:     global_buffer
      - .offset:         80
        .size:           4
        .value_kind:     by_value
      - .offset:         84
        .size:           4
        .value_kind:     by_value
      - .offset:         88
        .size:           4
        .value_kind:     by_value
    .group_segment_fixed_size: 0
    .kernarg_segment_align: 8
    .kernarg_segment_size: 92
    .language:       OpenCL C
    .language_version:
      - 2
      - 0
    .max_flat_workgroup_size: 256
    .name:           _ZN9rocsparseL24bsrsm_lower_large_kernelILj256ELj16ELb1E21rocsparse_complex_numIfEEEviiPKiS4_PKT2_iPS5_iPiS4_S9_21rocsparse_index_base_20rocsparse_diag_type_20rocsparse_direction_
    .private_segment_fixed_size: 0
    .sgpr_count:     38
    .sgpr_spill_count: 0
    .symbol:         _ZN9rocsparseL24bsrsm_lower_large_kernelILj256ELj16ELb1E21rocsparse_complex_numIfEEEviiPKiS4_PKT2_iPS5_iPiS4_S9_21rocsparse_index_base_20rocsparse_diag_type_20rocsparse_direction_.kd
    .uniform_work_group_size: 1
    .uses_dynamic_stack: false
    .vgpr_count:     18
    .vgpr_spill_count: 0
    .wavefront_size: 32
  - .args:
      - .offset:         0
        .size:           4
        .value_kind:     by_value
      - .offset:         4
        .size:           4
        .value_kind:     by_value
      - .address_space:  global
        .offset:         8
        .size:           8
        .value_kind:     global_buffer
      - .address_space:  global
        .offset:         16
        .size:           8
        .value_kind:     global_buffer
      - .address_space:  global
        .offset:         24
        .size:           8
        .value_kind:     global_buffer
      - .offset:         32
        .size:           4
        .value_kind:     by_value
      - .address_space:  global
        .offset:         40
        .size:           8
        .value_kind:     global_buffer
      - .offset:         48
        .size:           4
        .value_kind:     by_value
      - .address_space:  global
        .offset:         56
        .size:           8
        .value_kind:     global_buffer
      - .address_space:  global
        .offset:         64
        .size:           8
        .value_kind:     global_buffer
      - .address_space:  global
        .offset:         72
        .size:           8
        .value_kind:     global_buffer
      - .offset:         80
        .size:           4
        .value_kind:     by_value
      - .offset:         84
        .size:           4
        .value_kind:     by_value
      - .offset:         88
        .size:           4
        .value_kind:     by_value
    .group_segment_fixed_size: 0
    .kernarg_segment_align: 8
    .kernarg_segment_size: 92
    .language:       OpenCL C
    .language_version:
      - 2
      - 0
    .max_flat_workgroup_size: 64
    .name:           _ZN9rocsparseL24bsrsm_upper_large_kernelILj64ELj16ELb0E21rocsparse_complex_numIfEEEviiPKiS4_PKT2_iPS5_iPiS4_S9_21rocsparse_index_base_20rocsparse_diag_type_20rocsparse_direction_
    .private_segment_fixed_size: 0
    .sgpr_count:     38
    .sgpr_spill_count: 0
    .symbol:         _ZN9rocsparseL24bsrsm_upper_large_kernelILj64ELj16ELb0E21rocsparse_complex_numIfEEEviiPKiS4_PKT2_iPS5_iPiS4_S9_21rocsparse_index_base_20rocsparse_diag_type_20rocsparse_direction_.kd
    .uniform_work_group_size: 1
    .uses_dynamic_stack: false
    .vgpr_count:     18
    .vgpr_spill_count: 0
    .wavefront_size: 32
  - .args:
      - .offset:         0
        .size:           4
        .value_kind:     by_value
      - .offset:         4
        .size:           4
        .value_kind:     by_value
      - .address_space:  global
        .offset:         8
        .size:           8
        .value_kind:     global_buffer
      - .address_space:  global
        .offset:         16
        .size:           8
        .value_kind:     global_buffer
      - .address_space:  global
        .offset:         24
        .size:           8
        .value_kind:     global_buffer
      - .offset:         32
        .size:           4
        .value_kind:     by_value
      - .address_space:  global
        .offset:         40
        .size:           8
        .value_kind:     global_buffer
      - .offset:         48
        .size:           4
        .value_kind:     by_value
      - .address_space:  global
        .offset:         56
        .size:           8
        .value_kind:     global_buffer
      - .address_space:  global
        .offset:         64
        .size:           8
        .value_kind:     global_buffer
      - .address_space:  global
        .offset:         72
        .size:           8
        .value_kind:     global_buffer
      - .offset:         80
        .size:           4
        .value_kind:     by_value
      - .offset:         84
        .size:           4
        .value_kind:     by_value
      - .offset:         88
        .size:           4
        .value_kind:     by_value
    .group_segment_fixed_size: 0
    .kernarg_segment_align: 8
    .kernarg_segment_size: 92
    .language:       OpenCL C
    .language_version:
      - 2
      - 0
    .max_flat_workgroup_size: 64
    .name:           _ZN9rocsparseL24bsrsm_lower_large_kernelILj64ELj16ELb0E21rocsparse_complex_numIfEEEviiPKiS4_PKT2_iPS5_iPiS4_S9_21rocsparse_index_base_20rocsparse_diag_type_20rocsparse_direction_
    .private_segment_fixed_size: 0
    .sgpr_count:     38
    .sgpr_spill_count: 0
    .symbol:         _ZN9rocsparseL24bsrsm_lower_large_kernelILj64ELj16ELb0E21rocsparse_complex_numIfEEEviiPKiS4_PKT2_iPS5_iPiS4_S9_21rocsparse_index_base_20rocsparse_diag_type_20rocsparse_direction_.kd
    .uniform_work_group_size: 1
    .uses_dynamic_stack: false
    .vgpr_count:     18
    .vgpr_spill_count: 0
    .wavefront_size: 32
  - .args:
      - .offset:         0
        .size:           4
        .value_kind:     by_value
      - .offset:         4
        .size:           4
        .value_kind:     by_value
      - .address_space:  global
        .offset:         8
        .size:           8
        .value_kind:     global_buffer
      - .address_space:  global
        .offset:         16
        .size:           8
        .value_kind:     global_buffer
      - .address_space:  global
        .offset:         24
        .size:           8
        .value_kind:     global_buffer
      - .offset:         32
        .size:           4
        .value_kind:     by_value
      - .address_space:  global
        .offset:         40
        .size:           8
        .value_kind:     global_buffer
      - .offset:         48
        .size:           4
        .value_kind:     by_value
      - .address_space:  global
        .offset:         56
        .size:           8
        .value_kind:     global_buffer
      - .address_space:  global
        .offset:         64
        .size:           8
        .value_kind:     global_buffer
      - .address_space:  global
        .offset:         72
        .size:           8
        .value_kind:     global_buffer
      - .offset:         80
        .size:           4
        .value_kind:     by_value
      - .offset:         84
        .size:           4
        .value_kind:     by_value
      - .offset:         88
        .size:           4
        .value_kind:     by_value
    .group_segment_fixed_size: 0
    .kernarg_segment_align: 8
    .kernarg_segment_size: 92
    .language:       OpenCL C
    .language_version:
      - 2
      - 0
    .max_flat_workgroup_size: 128
    .name:           _ZN9rocsparseL24bsrsm_upper_large_kernelILj128ELj16ELb0E21rocsparse_complex_numIfEEEviiPKiS4_PKT2_iPS5_iPiS4_S9_21rocsparse_index_base_20rocsparse_diag_type_20rocsparse_direction_
    .private_segment_fixed_size: 0
    .sgpr_count:     38
    .sgpr_spill_count: 0
    .symbol:         _ZN9rocsparseL24bsrsm_upper_large_kernelILj128ELj16ELb0E21rocsparse_complex_numIfEEEviiPKiS4_PKT2_iPS5_iPiS4_S9_21rocsparse_index_base_20rocsparse_diag_type_20rocsparse_direction_.kd
    .uniform_work_group_size: 1
    .uses_dynamic_stack: false
    .vgpr_count:     18
    .vgpr_spill_count: 0
    .wavefront_size: 32
  - .args:
      - .offset:         0
        .size:           4
        .value_kind:     by_value
      - .offset:         4
        .size:           4
        .value_kind:     by_value
      - .address_space:  global
        .offset:         8
        .size:           8
        .value_kind:     global_buffer
      - .address_space:  global
        .offset:         16
        .size:           8
        .value_kind:     global_buffer
      - .address_space:  global
        .offset:         24
        .size:           8
        .value_kind:     global_buffer
      - .offset:         32
        .size:           4
        .value_kind:     by_value
      - .address_space:  global
        .offset:         40
        .size:           8
        .value_kind:     global_buffer
      - .offset:         48
        .size:           4
        .value_kind:     by_value
      - .address_space:  global
        .offset:         56
        .size:           8
        .value_kind:     global_buffer
      - .address_space:  global
        .offset:         64
        .size:           8
        .value_kind:     global_buffer
      - .address_space:  global
        .offset:         72
        .size:           8
        .value_kind:     global_buffer
      - .offset:         80
        .size:           4
        .value_kind:     by_value
      - .offset:         84
        .size:           4
        .value_kind:     by_value
      - .offset:         88
        .size:           4
        .value_kind:     by_value
    .group_segment_fixed_size: 0
    .kernarg_segment_align: 8
    .kernarg_segment_size: 92
    .language:       OpenCL C
    .language_version:
      - 2
      - 0
    .max_flat_workgroup_size: 128
    .name:           _ZN9rocsparseL24bsrsm_lower_large_kernelILj128ELj16ELb0E21rocsparse_complex_numIfEEEviiPKiS4_PKT2_iPS5_iPiS4_S9_21rocsparse_index_base_20rocsparse_diag_type_20rocsparse_direction_
    .private_segment_fixed_size: 0
    .sgpr_count:     38
    .sgpr_spill_count: 0
    .symbol:         _ZN9rocsparseL24bsrsm_lower_large_kernelILj128ELj16ELb0E21rocsparse_complex_numIfEEEviiPKiS4_PKT2_iPS5_iPiS4_S9_21rocsparse_index_base_20rocsparse_diag_type_20rocsparse_direction_.kd
    .uniform_work_group_size: 1
    .uses_dynamic_stack: false
    .vgpr_count:     18
    .vgpr_spill_count: 0
    .wavefront_size: 32
  - .args:
      - .offset:         0
        .size:           4
        .value_kind:     by_value
      - .offset:         4
        .size:           4
        .value_kind:     by_value
      - .address_space:  global
        .offset:         8
        .size:           8
        .value_kind:     global_buffer
      - .address_space:  global
        .offset:         16
        .size:           8
        .value_kind:     global_buffer
      - .address_space:  global
        .offset:         24
        .size:           8
        .value_kind:     global_buffer
      - .offset:         32
        .size:           4
        .value_kind:     by_value
      - .address_space:  global
        .offset:         40
        .size:           8
        .value_kind:     global_buffer
      - .offset:         48
        .size:           4
        .value_kind:     by_value
      - .address_space:  global
        .offset:         56
        .size:           8
        .value_kind:     global_buffer
      - .address_space:  global
        .offset:         64
        .size:           8
        .value_kind:     global_buffer
      - .address_space:  global
        .offset:         72
        .size:           8
        .value_kind:     global_buffer
      - .offset:         80
        .size:           4
        .value_kind:     by_value
      - .offset:         84
        .size:           4
        .value_kind:     by_value
      - .offset:         88
        .size:           4
        .value_kind:     by_value
    .group_segment_fixed_size: 0
    .kernarg_segment_align: 8
    .kernarg_segment_size: 92
    .language:       OpenCL C
    .language_version:
      - 2
      - 0
    .max_flat_workgroup_size: 256
    .name:           _ZN9rocsparseL24bsrsm_upper_large_kernelILj256ELj16ELb0E21rocsparse_complex_numIfEEEviiPKiS4_PKT2_iPS5_iPiS4_S9_21rocsparse_index_base_20rocsparse_diag_type_20rocsparse_direction_
    .private_segment_fixed_size: 0
    .sgpr_count:     38
    .sgpr_spill_count: 0
    .symbol:         _ZN9rocsparseL24bsrsm_upper_large_kernelILj256ELj16ELb0E21rocsparse_complex_numIfEEEviiPKiS4_PKT2_iPS5_iPiS4_S9_21rocsparse_index_base_20rocsparse_diag_type_20rocsparse_direction_.kd
    .uniform_work_group_size: 1
    .uses_dynamic_stack: false
    .vgpr_count:     18
    .vgpr_spill_count: 0
    .wavefront_size: 32
  - .args:
      - .offset:         0
        .size:           4
        .value_kind:     by_value
      - .offset:         4
        .size:           4
        .value_kind:     by_value
      - .address_space:  global
        .offset:         8
        .size:           8
        .value_kind:     global_buffer
      - .address_space:  global
        .offset:         16
        .size:           8
        .value_kind:     global_buffer
      - .address_space:  global
        .offset:         24
        .size:           8
        .value_kind:     global_buffer
      - .offset:         32
        .size:           4
        .value_kind:     by_value
      - .address_space:  global
        .offset:         40
        .size:           8
        .value_kind:     global_buffer
      - .offset:         48
        .size:           4
        .value_kind:     by_value
      - .address_space:  global
        .offset:         56
        .size:           8
        .value_kind:     global_buffer
      - .address_space:  global
        .offset:         64
        .size:           8
        .value_kind:     global_buffer
      - .address_space:  global
        .offset:         72
        .size:           8
        .value_kind:     global_buffer
      - .offset:         80
        .size:           4
        .value_kind:     by_value
      - .offset:         84
        .size:           4
        .value_kind:     by_value
      - .offset:         88
        .size:           4
        .value_kind:     by_value
    .group_segment_fixed_size: 0
    .kernarg_segment_align: 8
    .kernarg_segment_size: 92
    .language:       OpenCL C
    .language_version:
      - 2
      - 0
    .max_flat_workgroup_size: 256
    .name:           _ZN9rocsparseL24bsrsm_lower_large_kernelILj256ELj16ELb0E21rocsparse_complex_numIfEEEviiPKiS4_PKT2_iPS5_iPiS4_S9_21rocsparse_index_base_20rocsparse_diag_type_20rocsparse_direction_
    .private_segment_fixed_size: 0
    .sgpr_count:     38
    .sgpr_spill_count: 0
    .symbol:         _ZN9rocsparseL24bsrsm_lower_large_kernelILj256ELj16ELb0E21rocsparse_complex_numIfEEEviiPKiS4_PKT2_iPS5_iPiS4_S9_21rocsparse_index_base_20rocsparse_diag_type_20rocsparse_direction_.kd
    .uniform_work_group_size: 1
    .uses_dynamic_stack: false
    .vgpr_count:     18
    .vgpr_spill_count: 0
    .wavefront_size: 32
  - .args:
      - .offset:         0
        .size:           4
        .value_kind:     by_value
      - .offset:         4
        .size:           4
        .value_kind:     by_value
      - .address_space:  global
        .offset:         8
        .size:           8
        .value_kind:     global_buffer
      - .address_space:  global
        .offset:         16
        .size:           8
        .value_kind:     global_buffer
      - .address_space:  global
        .offset:         24
        .size:           8
        .value_kind:     global_buffer
      - .offset:         32
        .size:           4
        .value_kind:     by_value
      - .address_space:  global
        .offset:         40
        .size:           8
        .value_kind:     global_buffer
      - .offset:         48
        .size:           4
        .value_kind:     by_value
      - .address_space:  global
        .offset:         56
        .size:           8
        .value_kind:     global_buffer
      - .address_space:  global
        .offset:         64
        .size:           8
        .value_kind:     global_buffer
      - .address_space:  global
        .offset:         72
        .size:           8
        .value_kind:     global_buffer
      - .offset:         80
        .size:           4
        .value_kind:     by_value
      - .offset:         84
        .size:           4
        .value_kind:     by_value
      - .offset:         88
        .size:           4
        .value_kind:     by_value
    .group_segment_fixed_size: 0
    .kernarg_segment_align: 8
    .kernarg_segment_size: 92
    .language:       OpenCL C
    .language_version:
      - 2
      - 0
    .max_flat_workgroup_size: 512
    .name:           _ZN9rocsparseL24bsrsm_upper_large_kernelILj512ELj16ELb0E21rocsparse_complex_numIfEEEviiPKiS4_PKT2_iPS5_iPiS4_S9_21rocsparse_index_base_20rocsparse_diag_type_20rocsparse_direction_
    .private_segment_fixed_size: 0
    .sgpr_count:     38
    .sgpr_spill_count: 0
    .symbol:         _ZN9rocsparseL24bsrsm_upper_large_kernelILj512ELj16ELb0E21rocsparse_complex_numIfEEEviiPKiS4_PKT2_iPS5_iPiS4_S9_21rocsparse_index_base_20rocsparse_diag_type_20rocsparse_direction_.kd
    .uniform_work_group_size: 1
    .uses_dynamic_stack: false
    .vgpr_count:     18
    .vgpr_spill_count: 0
    .wavefront_size: 32
  - .args:
      - .offset:         0
        .size:           4
        .value_kind:     by_value
      - .offset:         4
        .size:           4
        .value_kind:     by_value
      - .address_space:  global
        .offset:         8
        .size:           8
        .value_kind:     global_buffer
      - .address_space:  global
        .offset:         16
        .size:           8
        .value_kind:     global_buffer
      - .address_space:  global
        .offset:         24
        .size:           8
        .value_kind:     global_buffer
      - .offset:         32
        .size:           4
        .value_kind:     by_value
      - .address_space:  global
        .offset:         40
        .size:           8
        .value_kind:     global_buffer
      - .offset:         48
        .size:           4
        .value_kind:     by_value
      - .address_space:  global
        .offset:         56
        .size:           8
        .value_kind:     global_buffer
      - .address_space:  global
        .offset:         64
        .size:           8
        .value_kind:     global_buffer
      - .address_space:  global
        .offset:         72
        .size:           8
        .value_kind:     global_buffer
      - .offset:         80
        .size:           4
        .value_kind:     by_value
      - .offset:         84
        .size:           4
        .value_kind:     by_value
      - .offset:         88
        .size:           4
        .value_kind:     by_value
    .group_segment_fixed_size: 0
    .kernarg_segment_align: 8
    .kernarg_segment_size: 92
    .language:       OpenCL C
    .language_version:
      - 2
      - 0
    .max_flat_workgroup_size: 512
    .name:           _ZN9rocsparseL24bsrsm_lower_large_kernelILj512ELj16ELb0E21rocsparse_complex_numIfEEEviiPKiS4_PKT2_iPS5_iPiS4_S9_21rocsparse_index_base_20rocsparse_diag_type_20rocsparse_direction_
    .private_segment_fixed_size: 0
    .sgpr_count:     38
    .sgpr_spill_count: 0
    .symbol:         _ZN9rocsparseL24bsrsm_lower_large_kernelILj512ELj16ELb0E21rocsparse_complex_numIfEEEviiPKiS4_PKT2_iPS5_iPiS4_S9_21rocsparse_index_base_20rocsparse_diag_type_20rocsparse_direction_.kd
    .uniform_work_group_size: 1
    .uses_dynamic_stack: false
    .vgpr_count:     18
    .vgpr_spill_count: 0
    .wavefront_size: 32
  - .args:
      - .offset:         0
        .size:           4
        .value_kind:     by_value
      - .offset:         4
        .size:           4
        .value_kind:     by_value
      - .address_space:  global
        .offset:         8
        .size:           8
        .value_kind:     global_buffer
      - .address_space:  global
        .offset:         16
        .size:           8
        .value_kind:     global_buffer
      - .address_space:  global
        .offset:         24
        .size:           8
        .value_kind:     global_buffer
      - .offset:         32
        .size:           4
        .value_kind:     by_value
      - .address_space:  global
        .offset:         40
        .size:           8
        .value_kind:     global_buffer
      - .offset:         48
        .size:           4
        .value_kind:     by_value
      - .address_space:  global
        .offset:         56
        .size:           8
        .value_kind:     global_buffer
      - .address_space:  global
        .offset:         64
        .size:           8
        .value_kind:     global_buffer
      - .address_space:  global
        .offset:         72
        .size:           8
        .value_kind:     global_buffer
      - .offset:         80
        .size:           4
        .value_kind:     by_value
      - .offset:         84
        .size:           4
        .value_kind:     by_value
      - .offset:         88
        .size:           4
        .value_kind:     by_value
    .group_segment_fixed_size: 0
    .kernarg_segment_align: 8
    .kernarg_segment_size: 92
    .language:       OpenCL C
    .language_version:
      - 2
      - 0
    .max_flat_workgroup_size: 1024
    .name:           _ZN9rocsparseL24bsrsm_upper_large_kernelILj1024ELj16ELb0E21rocsparse_complex_numIfEEEviiPKiS4_PKT2_iPS5_iPiS4_S9_21rocsparse_index_base_20rocsparse_diag_type_20rocsparse_direction_
    .private_segment_fixed_size: 0
    .sgpr_count:     38
    .sgpr_spill_count: 0
    .symbol:         _ZN9rocsparseL24bsrsm_upper_large_kernelILj1024ELj16ELb0E21rocsparse_complex_numIfEEEviiPKiS4_PKT2_iPS5_iPiS4_S9_21rocsparse_index_base_20rocsparse_diag_type_20rocsparse_direction_.kd
    .uniform_work_group_size: 1
    .uses_dynamic_stack: false
    .vgpr_count:     18
    .vgpr_spill_count: 0
    .wavefront_size: 32
  - .args:
      - .offset:         0
        .size:           4
        .value_kind:     by_value
      - .offset:         4
        .size:           4
        .value_kind:     by_value
      - .address_space:  global
        .offset:         8
        .size:           8
        .value_kind:     global_buffer
      - .address_space:  global
        .offset:         16
        .size:           8
        .value_kind:     global_buffer
      - .address_space:  global
        .offset:         24
        .size:           8
        .value_kind:     global_buffer
      - .offset:         32
        .size:           4
        .value_kind:     by_value
      - .address_space:  global
        .offset:         40
        .size:           8
        .value_kind:     global_buffer
      - .offset:         48
        .size:           4
        .value_kind:     by_value
      - .address_space:  global
        .offset:         56
        .size:           8
        .value_kind:     global_buffer
      - .address_space:  global
        .offset:         64
        .size:           8
        .value_kind:     global_buffer
      - .address_space:  global
        .offset:         72
        .size:           8
        .value_kind:     global_buffer
      - .offset:         80
        .size:           4
        .value_kind:     by_value
      - .offset:         84
        .size:           4
        .value_kind:     by_value
      - .offset:         88
        .size:           4
        .value_kind:     by_value
    .group_segment_fixed_size: 0
    .kernarg_segment_align: 8
    .kernarg_segment_size: 92
    .language:       OpenCL C
    .language_version:
      - 2
      - 0
    .max_flat_workgroup_size: 1024
    .name:           _ZN9rocsparseL24bsrsm_lower_large_kernelILj1024ELj16ELb0E21rocsparse_complex_numIfEEEviiPKiS4_PKT2_iPS5_iPiS4_S9_21rocsparse_index_base_20rocsparse_diag_type_20rocsparse_direction_
    .private_segment_fixed_size: 0
    .sgpr_count:     38
    .sgpr_spill_count: 0
    .symbol:         _ZN9rocsparseL24bsrsm_lower_large_kernelILj1024ELj16ELb0E21rocsparse_complex_numIfEEEviiPKiS4_PKT2_iPS5_iPiS4_S9_21rocsparse_index_base_20rocsparse_diag_type_20rocsparse_direction_.kd
    .uniform_work_group_size: 1
    .uses_dynamic_stack: false
    .vgpr_count:     18
    .vgpr_spill_count: 0
    .wavefront_size: 32
  - .args:
      - .offset:         0
        .size:           4
        .value_kind:     by_value
      - .offset:         4
        .size:           4
        .value_kind:     by_value
      - .offset:         8
        .size:           16
        .value_kind:     by_value
      - .address_space:  global
        .offset:         24
        .size:           8
        .value_kind:     global_buffer
      - .offset:         32
        .size:           8
        .value_kind:     by_value
      - .address_space:  global
        .offset:         40
        .size:           8
        .value_kind:     global_buffer
      - .offset:         48
        .size:           8
        .value_kind:     by_value
      - .offset:         56
        .size:           1
        .value_kind:     by_value
      - .offset:         64
        .size:           4
        .value_kind:     hidden_block_count_x
      - .offset:         68
        .size:           4
        .value_kind:     hidden_block_count_y
      - .offset:         72
        .size:           4
        .value_kind:     hidden_block_count_z
      - .offset:         76
        .size:           2
        .value_kind:     hidden_group_size_x
      - .offset:         78
        .size:           2
        .value_kind:     hidden_group_size_y
      - .offset:         80
        .size:           2
        .value_kind:     hidden_group_size_z
      - .offset:         82
        .size:           2
        .value_kind:     hidden_remainder_x
      - .offset:         84
        .size:           2
        .value_kind:     hidden_remainder_y
      - .offset:         86
        .size:           2
        .value_kind:     hidden_remainder_z
      - .offset:         104
        .size:           8
        .value_kind:     hidden_global_offset_x
      - .offset:         112
        .size:           8
        .value_kind:     hidden_global_offset_y
      - .offset:         120
        .size:           8
        .value_kind:     hidden_global_offset_z
      - .offset:         128
        .size:           2
        .value_kind:     hidden_grid_dims
    .group_segment_fixed_size: 0
    .kernarg_segment_align: 8
    .kernarg_segment_size: 320
    .language:       OpenCL C
    .language_version:
      - 2
      - 0
    .max_flat_workgroup_size: 1024
    .name:           _ZN9rocsparseL16bsrsm_copy_scaleILj1024E21rocsparse_complex_numIdEEEviiNS_24const_host_device_scalarIT0_EEPKS4_lPS4_lb
    .private_segment_fixed_size: 16
    .sgpr_count:     14
    .sgpr_spill_count: 0
    .symbol:         _ZN9rocsparseL16bsrsm_copy_scaleILj1024E21rocsparse_complex_numIdEEEviiNS_24const_host_device_scalarIT0_EEPKS4_lPS4_lb.kd
    .uniform_work_group_size: 1
    .uses_dynamic_stack: false
    .vgpr_count:     16
    .vgpr_spill_count: 0
    .wavefront_size: 32
  - .args:
      - .offset:         0
        .size:           4
        .value_kind:     by_value
      - .offset:         4
        .size:           4
        .value_kind:     by_value
      - .actual_access:  read_only
        .address_space:  global
        .offset:         8
        .size:           8
        .value_kind:     global_buffer
      - .actual_access:  read_only
        .address_space:  global
        .offset:         16
        .size:           8
        .value_kind:     global_buffer
      - .actual_access:  write_only
        .address_space:  global
        .offset:         24
        .size:           8
        .value_kind:     global_buffer
      - .offset:         32
        .size:           4
        .value_kind:     by_value
    .group_segment_fixed_size: 0
    .kernarg_segment_align: 8
    .kernarg_segment_size: 36
    .language:       OpenCL C
    .language_version:
      - 2
      - 0
    .max_flat_workgroup_size: 256
    .name:           _ZN9rocsparseL10bsr_gatherILj4ELj64ELj2Ei21rocsparse_complex_numIdEEEv20rocsparse_direction_T2_PKS4_PKT3_PS7_S4_
    .private_segment_fixed_size: 0
    .sgpr_count:     13
    .sgpr_spill_count: 0
    .symbol:         _ZN9rocsparseL10bsr_gatherILj4ELj64ELj2Ei21rocsparse_complex_numIdEEEv20rocsparse_direction_T2_PKS4_PKT3_PS7_S4_.kd
    .uniform_work_group_size: 1
    .uses_dynamic_stack: false
    .vgpr_count:     14
    .vgpr_spill_count: 0
    .wavefront_size: 32
  - .args:
      - .offset:         0
        .size:           4
        .value_kind:     by_value
      - .offset:         4
        .size:           4
        .value_kind:     by_value
      - .actual_access:  read_only
        .address_space:  global
        .offset:         8
        .size:           8
        .value_kind:     global_buffer
      - .actual_access:  read_only
        .address_space:  global
        .offset:         16
        .size:           8
        .value_kind:     global_buffer
      - .actual_access:  write_only
        .address_space:  global
        .offset:         24
        .size:           8
        .value_kind:     global_buffer
      - .offset:         32
        .size:           4
        .value_kind:     by_value
    .group_segment_fixed_size: 0
    .kernarg_segment_align: 8
    .kernarg_segment_size: 36
    .language:       OpenCL C
    .language_version:
      - 2
      - 0
    .max_flat_workgroup_size: 256
    .name:           _ZN9rocsparseL10bsr_gatherILj16ELj16ELj4Ei21rocsparse_complex_numIdEEEv20rocsparse_direction_T2_PKS4_PKT3_PS7_S4_
    .private_segment_fixed_size: 0
    .sgpr_count:     13
    .sgpr_spill_count: 0
    .symbol:         _ZN9rocsparseL10bsr_gatherILj16ELj16ELj4Ei21rocsparse_complex_numIdEEEv20rocsparse_direction_T2_PKS4_PKT3_PS7_S4_.kd
    .uniform_work_group_size: 1
    .uses_dynamic_stack: false
    .vgpr_count:     14
    .vgpr_spill_count: 0
    .wavefront_size: 32
  - .args:
      - .offset:         0
        .size:           4
        .value_kind:     by_value
      - .offset:         4
        .size:           4
        .value_kind:     by_value
      - .actual_access:  read_only
        .address_space:  global
        .offset:         8
        .size:           8
        .value_kind:     global_buffer
      - .actual_access:  read_only
        .address_space:  global
        .offset:         16
        .size:           8
        .value_kind:     global_buffer
      - .actual_access:  write_only
        .address_space:  global
        .offset:         24
        .size:           8
        .value_kind:     global_buffer
      - .offset:         32
        .size:           4
        .value_kind:     by_value
    .group_segment_fixed_size: 0
    .kernarg_segment_align: 8
    .kernarg_segment_size: 36
    .language:       OpenCL C
    .language_version:
      - 2
      - 0
    .max_flat_workgroup_size: 256
    .name:           _ZN9rocsparseL10bsr_gatherILj64ELj4ELj8Ei21rocsparse_complex_numIdEEEv20rocsparse_direction_T2_PKS4_PKT3_PS7_S4_
    .private_segment_fixed_size: 0
    .sgpr_count:     13
    .sgpr_spill_count: 0
    .symbol:         _ZN9rocsparseL10bsr_gatherILj64ELj4ELj8Ei21rocsparse_complex_numIdEEEv20rocsparse_direction_T2_PKS4_PKT3_PS7_S4_.kd
    .uniform_work_group_size: 1
    .uses_dynamic_stack: false
    .vgpr_count:     14
    .vgpr_spill_count: 0
    .wavefront_size: 32
  - .args:
      - .offset:         0
        .size:           4
        .value_kind:     by_value
      - .offset:         4
        .size:           4
        .value_kind:     by_value
      - .address_space:  global
        .offset:         8
        .size:           8
        .value_kind:     global_buffer
      - .address_space:  global
        .offset:         16
        .size:           8
        .value_kind:     global_buffer
      - .address_space:  global
        .offset:         24
        .size:           8
        .value_kind:     global_buffer
      - .offset:         32
        .size:           4
        .value_kind:     by_value
      - .address_space:  global
        .offset:         40
        .size:           8
        .value_kind:     global_buffer
      - .offset:         48
        .size:           4
        .value_kind:     by_value
      - .address_space:  global
        .offset:         56
        .size:           8
        .value_kind:     global_buffer
      - .address_space:  global
        .offset:         64
        .size:           8
        .value_kind:     global_buffer
      - .address_space:  global
        .offset:         72
        .size:           8
        .value_kind:     global_buffer
      - .offset:         80
        .size:           4
        .value_kind:     by_value
      - .offset:         84
        .size:           4
        .value_kind:     by_value
      - .offset:         88
        .size:           4
        .value_kind:     by_value
    .group_segment_fixed_size: 0
    .kernarg_segment_align: 8
    .kernarg_segment_size: 92
    .language:       OpenCL C
    .language_version:
      - 2
      - 0
    .max_flat_workgroup_size: 256
    .name:           _ZN9rocsparseL24bsrsm_upper_large_kernelILj256ELj16ELb1E21rocsparse_complex_numIdEEEviiPKiS4_PKT2_iPS5_iPiS4_S9_21rocsparse_index_base_20rocsparse_diag_type_20rocsparse_direction_
    .private_segment_fixed_size: 0
    .sgpr_count:     38
    .sgpr_spill_count: 0
    .symbol:         _ZN9rocsparseL24bsrsm_upper_large_kernelILj256ELj16ELb1E21rocsparse_complex_numIdEEEviiPKiS4_PKT2_iPS5_iPiS4_S9_21rocsparse_index_base_20rocsparse_diag_type_20rocsparse_direction_.kd
    .uniform_work_group_size: 1
    .uses_dynamic_stack: false
    .vgpr_count:     24
    .vgpr_spill_count: 0
    .wavefront_size: 32
  - .args:
      - .offset:         0
        .size:           4
        .value_kind:     by_value
      - .offset:         4
        .size:           4
        .value_kind:     by_value
      - .address_space:  global
        .offset:         8
        .size:           8
        .value_kind:     global_buffer
      - .address_space:  global
        .offset:         16
        .size:           8
        .value_kind:     global_buffer
      - .address_space:  global
        .offset:         24
        .size:           8
        .value_kind:     global_buffer
      - .offset:         32
        .size:           4
        .value_kind:     by_value
      - .address_space:  global
        .offset:         40
        .size:           8
        .value_kind:     global_buffer
      - .offset:         48
        .size:           4
        .value_kind:     by_value
      - .address_space:  global
        .offset:         56
        .size:           8
        .value_kind:     global_buffer
      - .address_space:  global
        .offset:         64
        .size:           8
        .value_kind:     global_buffer
      - .address_space:  global
        .offset:         72
        .size:           8
        .value_kind:     global_buffer
      - .offset:         80
        .size:           4
        .value_kind:     by_value
      - .offset:         84
        .size:           4
        .value_kind:     by_value
      - .offset:         88
        .size:           4
        .value_kind:     by_value
    .group_segment_fixed_size: 0
    .kernarg_segment_align: 8
    .kernarg_segment_size: 92
    .language:       OpenCL C
    .language_version:
      - 2
      - 0
    .max_flat_workgroup_size: 256
    .name:           _ZN9rocsparseL24bsrsm_lower_large_kernelILj256ELj16ELb1E21rocsparse_complex_numIdEEEviiPKiS4_PKT2_iPS5_iPiS4_S9_21rocsparse_index_base_20rocsparse_diag_type_20rocsparse_direction_
    .private_segment_fixed_size: 0
    .sgpr_count:     38
    .sgpr_spill_count: 0
    .symbol:         _ZN9rocsparseL24bsrsm_lower_large_kernelILj256ELj16ELb1E21rocsparse_complex_numIdEEEviiPKiS4_PKT2_iPS5_iPiS4_S9_21rocsparse_index_base_20rocsparse_diag_type_20rocsparse_direction_.kd
    .uniform_work_group_size: 1
    .uses_dynamic_stack: false
    .vgpr_count:     24
    .vgpr_spill_count: 0
    .wavefront_size: 32
  - .args:
      - .offset:         0
        .size:           4
        .value_kind:     by_value
      - .offset:         4
        .size:           4
        .value_kind:     by_value
      - .address_space:  global
        .offset:         8
        .size:           8
        .value_kind:     global_buffer
      - .address_space:  global
        .offset:         16
        .size:           8
        .value_kind:     global_buffer
      - .address_space:  global
        .offset:         24
        .size:           8
        .value_kind:     global_buffer
      - .offset:         32
        .size:           4
        .value_kind:     by_value
      - .address_space:  global
        .offset:         40
        .size:           8
        .value_kind:     global_buffer
      - .offset:         48
        .size:           4
        .value_kind:     by_value
      - .address_space:  global
        .offset:         56
        .size:           8
        .value_kind:     global_buffer
      - .address_space:  global
        .offset:         64
        .size:           8
        .value_kind:     global_buffer
      - .address_space:  global
        .offset:         72
        .size:           8
        .value_kind:     global_buffer
      - .offset:         80
        .size:           4
        .value_kind:     by_value
      - .offset:         84
        .size:           4
        .value_kind:     by_value
      - .offset:         88
        .size:           4
        .value_kind:     by_value
    .group_segment_fixed_size: 0
    .kernarg_segment_align: 8
    .kernarg_segment_size: 92
    .language:       OpenCL C
    .language_version:
      - 2
      - 0
    .max_flat_workgroup_size: 64
    .name:           _ZN9rocsparseL24bsrsm_upper_large_kernelILj64ELj16ELb0E21rocsparse_complex_numIdEEEviiPKiS4_PKT2_iPS5_iPiS4_S9_21rocsparse_index_base_20rocsparse_diag_type_20rocsparse_direction_
    .private_segment_fixed_size: 0
    .sgpr_count:     38
    .sgpr_spill_count: 0
    .symbol:         _ZN9rocsparseL24bsrsm_upper_large_kernelILj64ELj16ELb0E21rocsparse_complex_numIdEEEviiPKiS4_PKT2_iPS5_iPiS4_S9_21rocsparse_index_base_20rocsparse_diag_type_20rocsparse_direction_.kd
    .uniform_work_group_size: 1
    .uses_dynamic_stack: false
    .vgpr_count:     24
    .vgpr_spill_count: 0
    .wavefront_size: 32
  - .args:
      - .offset:         0
        .size:           4
        .value_kind:     by_value
      - .offset:         4
        .size:           4
        .value_kind:     by_value
      - .address_space:  global
        .offset:         8
        .size:           8
        .value_kind:     global_buffer
      - .address_space:  global
        .offset:         16
        .size:           8
        .value_kind:     global_buffer
      - .address_space:  global
        .offset:         24
        .size:           8
        .value_kind:     global_buffer
      - .offset:         32
        .size:           4
        .value_kind:     by_value
      - .address_space:  global
        .offset:         40
        .size:           8
        .value_kind:     global_buffer
      - .offset:         48
        .size:           4
        .value_kind:     by_value
      - .address_space:  global
        .offset:         56
        .size:           8
        .value_kind:     global_buffer
      - .address_space:  global
        .offset:         64
        .size:           8
        .value_kind:     global_buffer
      - .address_space:  global
        .offset:         72
        .size:           8
        .value_kind:     global_buffer
      - .offset:         80
        .size:           4
        .value_kind:     by_value
      - .offset:         84
        .size:           4
        .value_kind:     by_value
      - .offset:         88
        .size:           4
        .value_kind:     by_value
    .group_segment_fixed_size: 0
    .kernarg_segment_align: 8
    .kernarg_segment_size: 92
    .language:       OpenCL C
    .language_version:
      - 2
      - 0
    .max_flat_workgroup_size: 64
    .name:           _ZN9rocsparseL24bsrsm_lower_large_kernelILj64ELj16ELb0E21rocsparse_complex_numIdEEEviiPKiS4_PKT2_iPS5_iPiS4_S9_21rocsparse_index_base_20rocsparse_diag_type_20rocsparse_direction_
    .private_segment_fixed_size: 0
    .sgpr_count:     38
    .sgpr_spill_count: 0
    .symbol:         _ZN9rocsparseL24bsrsm_lower_large_kernelILj64ELj16ELb0E21rocsparse_complex_numIdEEEviiPKiS4_PKT2_iPS5_iPiS4_S9_21rocsparse_index_base_20rocsparse_diag_type_20rocsparse_direction_.kd
    .uniform_work_group_size: 1
    .uses_dynamic_stack: false
    .vgpr_count:     24
    .vgpr_spill_count: 0
    .wavefront_size: 32
  - .args:
      - .offset:         0
        .size:           4
        .value_kind:     by_value
      - .offset:         4
        .size:           4
        .value_kind:     by_value
      - .address_space:  global
        .offset:         8
        .size:           8
        .value_kind:     global_buffer
      - .address_space:  global
        .offset:         16
        .size:           8
        .value_kind:     global_buffer
      - .address_space:  global
        .offset:         24
        .size:           8
        .value_kind:     global_buffer
      - .offset:         32
        .size:           4
        .value_kind:     by_value
      - .address_space:  global
        .offset:         40
        .size:           8
        .value_kind:     global_buffer
      - .offset:         48
        .size:           4
        .value_kind:     by_value
      - .address_space:  global
        .offset:         56
        .size:           8
        .value_kind:     global_buffer
      - .address_space:  global
        .offset:         64
        .size:           8
        .value_kind:     global_buffer
      - .address_space:  global
        .offset:         72
        .size:           8
        .value_kind:     global_buffer
      - .offset:         80
        .size:           4
        .value_kind:     by_value
      - .offset:         84
        .size:           4
        .value_kind:     by_value
      - .offset:         88
        .size:           4
        .value_kind:     by_value
    .group_segment_fixed_size: 0
    .kernarg_segment_align: 8
    .kernarg_segment_size: 92
    .language:       OpenCL C
    .language_version:
      - 2
      - 0
    .max_flat_workgroup_size: 128
    .name:           _ZN9rocsparseL24bsrsm_upper_large_kernelILj128ELj16ELb0E21rocsparse_complex_numIdEEEviiPKiS4_PKT2_iPS5_iPiS4_S9_21rocsparse_index_base_20rocsparse_diag_type_20rocsparse_direction_
    .private_segment_fixed_size: 0
    .sgpr_count:     38
    .sgpr_spill_count: 0
    .symbol:         _ZN9rocsparseL24bsrsm_upper_large_kernelILj128ELj16ELb0E21rocsparse_complex_numIdEEEviiPKiS4_PKT2_iPS5_iPiS4_S9_21rocsparse_index_base_20rocsparse_diag_type_20rocsparse_direction_.kd
    .uniform_work_group_size: 1
    .uses_dynamic_stack: false
    .vgpr_count:     24
    .vgpr_spill_count: 0
    .wavefront_size: 32
  - .args:
      - .offset:         0
        .size:           4
        .value_kind:     by_value
      - .offset:         4
        .size:           4
        .value_kind:     by_value
      - .address_space:  global
        .offset:         8
        .size:           8
        .value_kind:     global_buffer
      - .address_space:  global
        .offset:         16
        .size:           8
        .value_kind:     global_buffer
      - .address_space:  global
        .offset:         24
        .size:           8
        .value_kind:     global_buffer
      - .offset:         32
        .size:           4
        .value_kind:     by_value
      - .address_space:  global
        .offset:         40
        .size:           8
        .value_kind:     global_buffer
      - .offset:         48
        .size:           4
        .value_kind:     by_value
      - .address_space:  global
        .offset:         56
        .size:           8
        .value_kind:     global_buffer
      - .address_space:  global
        .offset:         64
        .size:           8
        .value_kind:     global_buffer
      - .address_space:  global
        .offset:         72
        .size:           8
        .value_kind:     global_buffer
      - .offset:         80
        .size:           4
        .value_kind:     by_value
      - .offset:         84
        .size:           4
        .value_kind:     by_value
      - .offset:         88
        .size:           4
        .value_kind:     by_value
    .group_segment_fixed_size: 0
    .kernarg_segment_align: 8
    .kernarg_segment_size: 92
    .language:       OpenCL C
    .language_version:
      - 2
      - 0
    .max_flat_workgroup_size: 128
    .name:           _ZN9rocsparseL24bsrsm_lower_large_kernelILj128ELj16ELb0E21rocsparse_complex_numIdEEEviiPKiS4_PKT2_iPS5_iPiS4_S9_21rocsparse_index_base_20rocsparse_diag_type_20rocsparse_direction_
    .private_segment_fixed_size: 0
    .sgpr_count:     38
    .sgpr_spill_count: 0
    .symbol:         _ZN9rocsparseL24bsrsm_lower_large_kernelILj128ELj16ELb0E21rocsparse_complex_numIdEEEviiPKiS4_PKT2_iPS5_iPiS4_S9_21rocsparse_index_base_20rocsparse_diag_type_20rocsparse_direction_.kd
    .uniform_work_group_size: 1
    .uses_dynamic_stack: false
    .vgpr_count:     24
    .vgpr_spill_count: 0
    .wavefront_size: 32
  - .args:
      - .offset:         0
        .size:           4
        .value_kind:     by_value
      - .offset:         4
        .size:           4
        .value_kind:     by_value
      - .address_space:  global
        .offset:         8
        .size:           8
        .value_kind:     global_buffer
      - .address_space:  global
        .offset:         16
        .size:           8
        .value_kind:     global_buffer
      - .address_space:  global
        .offset:         24
        .size:           8
        .value_kind:     global_buffer
      - .offset:         32
        .size:           4
        .value_kind:     by_value
      - .address_space:  global
        .offset:         40
        .size:           8
        .value_kind:     global_buffer
      - .offset:         48
        .size:           4
        .value_kind:     by_value
      - .address_space:  global
        .offset:         56
        .size:           8
        .value_kind:     global_buffer
      - .address_space:  global
        .offset:         64
        .size:           8
        .value_kind:     global_buffer
      - .address_space:  global
        .offset:         72
        .size:           8
        .value_kind:     global_buffer
      - .offset:         80
        .size:           4
        .value_kind:     by_value
      - .offset:         84
        .size:           4
        .value_kind:     by_value
      - .offset:         88
        .size:           4
        .value_kind:     by_value
    .group_segment_fixed_size: 0
    .kernarg_segment_align: 8
    .kernarg_segment_size: 92
    .language:       OpenCL C
    .language_version:
      - 2
      - 0
    .max_flat_workgroup_size: 256
    .name:           _ZN9rocsparseL24bsrsm_upper_large_kernelILj256ELj16ELb0E21rocsparse_complex_numIdEEEviiPKiS4_PKT2_iPS5_iPiS4_S9_21rocsparse_index_base_20rocsparse_diag_type_20rocsparse_direction_
    .private_segment_fixed_size: 0
    .sgpr_count:     38
    .sgpr_spill_count: 0
    .symbol:         _ZN9rocsparseL24bsrsm_upper_large_kernelILj256ELj16ELb0E21rocsparse_complex_numIdEEEviiPKiS4_PKT2_iPS5_iPiS4_S9_21rocsparse_index_base_20rocsparse_diag_type_20rocsparse_direction_.kd
    .uniform_work_group_size: 1
    .uses_dynamic_stack: false
    .vgpr_count:     24
    .vgpr_spill_count: 0
    .wavefront_size: 32
  - .args:
      - .offset:         0
        .size:           4
        .value_kind:     by_value
      - .offset:         4
        .size:           4
        .value_kind:     by_value
      - .address_space:  global
        .offset:         8
        .size:           8
        .value_kind:     global_buffer
      - .address_space:  global
        .offset:         16
        .size:           8
        .value_kind:     global_buffer
      - .address_space:  global
        .offset:         24
        .size:           8
        .value_kind:     global_buffer
      - .offset:         32
        .size:           4
        .value_kind:     by_value
      - .address_space:  global
        .offset:         40
        .size:           8
        .value_kind:     global_buffer
      - .offset:         48
        .size:           4
        .value_kind:     by_value
      - .address_space:  global
        .offset:         56
        .size:           8
        .value_kind:     global_buffer
      - .address_space:  global
        .offset:         64
        .size:           8
        .value_kind:     global_buffer
      - .address_space:  global
        .offset:         72
        .size:           8
        .value_kind:     global_buffer
      - .offset:         80
        .size:           4
        .value_kind:     by_value
      - .offset:         84
        .size:           4
        .value_kind:     by_value
      - .offset:         88
        .size:           4
        .value_kind:     by_value
    .group_segment_fixed_size: 0
    .kernarg_segment_align: 8
    .kernarg_segment_size: 92
    .language:       OpenCL C
    .language_version:
      - 2
      - 0
    .max_flat_workgroup_size: 256
    .name:           _ZN9rocsparseL24bsrsm_lower_large_kernelILj256ELj16ELb0E21rocsparse_complex_numIdEEEviiPKiS4_PKT2_iPS5_iPiS4_S9_21rocsparse_index_base_20rocsparse_diag_type_20rocsparse_direction_
    .private_segment_fixed_size: 0
    .sgpr_count:     38
    .sgpr_spill_count: 0
    .symbol:         _ZN9rocsparseL24bsrsm_lower_large_kernelILj256ELj16ELb0E21rocsparse_complex_numIdEEEviiPKiS4_PKT2_iPS5_iPiS4_S9_21rocsparse_index_base_20rocsparse_diag_type_20rocsparse_direction_.kd
    .uniform_work_group_size: 1
    .uses_dynamic_stack: false
    .vgpr_count:     24
    .vgpr_spill_count: 0
    .wavefront_size: 32
  - .args:
      - .offset:         0
        .size:           4
        .value_kind:     by_value
      - .offset:         4
        .size:           4
        .value_kind:     by_value
      - .address_space:  global
        .offset:         8
        .size:           8
        .value_kind:     global_buffer
      - .address_space:  global
        .offset:         16
        .size:           8
        .value_kind:     global_buffer
      - .address_space:  global
        .offset:         24
        .size:           8
        .value_kind:     global_buffer
      - .offset:         32
        .size:           4
        .value_kind:     by_value
      - .address_space:  global
        .offset:         40
        .size:           8
        .value_kind:     global_buffer
      - .offset:         48
        .size:           4
        .value_kind:     by_value
      - .address_space:  global
        .offset:         56
        .size:           8
        .value_kind:     global_buffer
      - .address_space:  global
        .offset:         64
        .size:           8
        .value_kind:     global_buffer
      - .address_space:  global
        .offset:         72
        .size:           8
        .value_kind:     global_buffer
      - .offset:         80
        .size:           4
        .value_kind:     by_value
      - .offset:         84
        .size:           4
        .value_kind:     by_value
      - .offset:         88
        .size:           4
        .value_kind:     by_value
    .group_segment_fixed_size: 0
    .kernarg_segment_align: 8
    .kernarg_segment_size: 92
    .language:       OpenCL C
    .language_version:
      - 2
      - 0
    .max_flat_workgroup_size: 512
    .name:           _ZN9rocsparseL24bsrsm_upper_large_kernelILj512ELj16ELb0E21rocsparse_complex_numIdEEEviiPKiS4_PKT2_iPS5_iPiS4_S9_21rocsparse_index_base_20rocsparse_diag_type_20rocsparse_direction_
    .private_segment_fixed_size: 0
    .sgpr_count:     38
    .sgpr_spill_count: 0
    .symbol:         _ZN9rocsparseL24bsrsm_upper_large_kernelILj512ELj16ELb0E21rocsparse_complex_numIdEEEviiPKiS4_PKT2_iPS5_iPiS4_S9_21rocsparse_index_base_20rocsparse_diag_type_20rocsparse_direction_.kd
    .uniform_work_group_size: 1
    .uses_dynamic_stack: false
    .vgpr_count:     24
    .vgpr_spill_count: 0
    .wavefront_size: 32
  - .args:
      - .offset:         0
        .size:           4
        .value_kind:     by_value
      - .offset:         4
        .size:           4
        .value_kind:     by_value
      - .address_space:  global
        .offset:         8
        .size:           8
        .value_kind:     global_buffer
      - .address_space:  global
        .offset:         16
        .size:           8
        .value_kind:     global_buffer
      - .address_space:  global
        .offset:         24
        .size:           8
        .value_kind:     global_buffer
      - .offset:         32
        .size:           4
        .value_kind:     by_value
      - .address_space:  global
        .offset:         40
        .size:           8
        .value_kind:     global_buffer
      - .offset:         48
        .size:           4
        .value_kind:     by_value
      - .address_space:  global
        .offset:         56
        .size:           8
        .value_kind:     global_buffer
      - .address_space:  global
        .offset:         64
        .size:           8
        .value_kind:     global_buffer
      - .address_space:  global
        .offset:         72
        .size:           8
        .value_kind:     global_buffer
      - .offset:         80
        .size:           4
        .value_kind:     by_value
      - .offset:         84
        .size:           4
        .value_kind:     by_value
      - .offset:         88
        .size:           4
        .value_kind:     by_value
    .group_segment_fixed_size: 0
    .kernarg_segment_align: 8
    .kernarg_segment_size: 92
    .language:       OpenCL C
    .language_version:
      - 2
      - 0
    .max_flat_workgroup_size: 512
    .name:           _ZN9rocsparseL24bsrsm_lower_large_kernelILj512ELj16ELb0E21rocsparse_complex_numIdEEEviiPKiS4_PKT2_iPS5_iPiS4_S9_21rocsparse_index_base_20rocsparse_diag_type_20rocsparse_direction_
    .private_segment_fixed_size: 0
    .sgpr_count:     38
    .sgpr_spill_count: 0
    .symbol:         _ZN9rocsparseL24bsrsm_lower_large_kernelILj512ELj16ELb0E21rocsparse_complex_numIdEEEviiPKiS4_PKT2_iPS5_iPiS4_S9_21rocsparse_index_base_20rocsparse_diag_type_20rocsparse_direction_.kd
    .uniform_work_group_size: 1
    .uses_dynamic_stack: false
    .vgpr_count:     24
    .vgpr_spill_count: 0
    .wavefront_size: 32
  - .args:
      - .offset:         0
        .size:           4
        .value_kind:     by_value
      - .offset:         4
        .size:           4
        .value_kind:     by_value
      - .address_space:  global
        .offset:         8
        .size:           8
        .value_kind:     global_buffer
      - .address_space:  global
        .offset:         16
        .size:           8
        .value_kind:     global_buffer
      - .address_space:  global
        .offset:         24
        .size:           8
        .value_kind:     global_buffer
      - .offset:         32
        .size:           4
        .value_kind:     by_value
      - .address_space:  global
        .offset:         40
        .size:           8
        .value_kind:     global_buffer
      - .offset:         48
        .size:           4
        .value_kind:     by_value
      - .address_space:  global
        .offset:         56
        .size:           8
        .value_kind:     global_buffer
      - .address_space:  global
        .offset:         64
        .size:           8
        .value_kind:     global_buffer
      - .address_space:  global
        .offset:         72
        .size:           8
        .value_kind:     global_buffer
      - .offset:         80
        .size:           4
        .value_kind:     by_value
      - .offset:         84
        .size:           4
        .value_kind:     by_value
      - .offset:         88
        .size:           4
        .value_kind:     by_value
    .group_segment_fixed_size: 0
    .kernarg_segment_align: 8
    .kernarg_segment_size: 92
    .language:       OpenCL C
    .language_version:
      - 2
      - 0
    .max_flat_workgroup_size: 1024
    .name:           _ZN9rocsparseL24bsrsm_upper_large_kernelILj1024ELj16ELb0E21rocsparse_complex_numIdEEEviiPKiS4_PKT2_iPS5_iPiS4_S9_21rocsparse_index_base_20rocsparse_diag_type_20rocsparse_direction_
    .private_segment_fixed_size: 0
    .sgpr_count:     38
    .sgpr_spill_count: 0
    .symbol:         _ZN9rocsparseL24bsrsm_upper_large_kernelILj1024ELj16ELb0E21rocsparse_complex_numIdEEEviiPKiS4_PKT2_iPS5_iPiS4_S9_21rocsparse_index_base_20rocsparse_diag_type_20rocsparse_direction_.kd
    .uniform_work_group_size: 1
    .uses_dynamic_stack: false
    .vgpr_count:     24
    .vgpr_spill_count: 0
    .wavefront_size: 32
  - .args:
      - .offset:         0
        .size:           4
        .value_kind:     by_value
      - .offset:         4
        .size:           4
        .value_kind:     by_value
      - .address_space:  global
        .offset:         8
        .size:           8
        .value_kind:     global_buffer
      - .address_space:  global
        .offset:         16
        .size:           8
        .value_kind:     global_buffer
      - .address_space:  global
        .offset:         24
        .size:           8
        .value_kind:     global_buffer
      - .offset:         32
        .size:           4
        .value_kind:     by_value
      - .address_space:  global
        .offset:         40
        .size:           8
        .value_kind:     global_buffer
      - .offset:         48
        .size:           4
        .value_kind:     by_value
      - .address_space:  global
        .offset:         56
        .size:           8
        .value_kind:     global_buffer
      - .address_space:  global
        .offset:         64
        .size:           8
        .value_kind:     global_buffer
      - .address_space:  global
        .offset:         72
        .size:           8
        .value_kind:     global_buffer
      - .offset:         80
        .size:           4
        .value_kind:     by_value
      - .offset:         84
        .size:           4
        .value_kind:     by_value
      - .offset:         88
        .size:           4
        .value_kind:     by_value
    .group_segment_fixed_size: 0
    .kernarg_segment_align: 8
    .kernarg_segment_size: 92
    .language:       OpenCL C
    .language_version:
      - 2
      - 0
    .max_flat_workgroup_size: 1024
    .name:           _ZN9rocsparseL24bsrsm_lower_large_kernelILj1024ELj16ELb0E21rocsparse_complex_numIdEEEviiPKiS4_PKT2_iPS5_iPiS4_S9_21rocsparse_index_base_20rocsparse_diag_type_20rocsparse_direction_
    .private_segment_fixed_size: 0
    .sgpr_count:     38
    .sgpr_spill_count: 0
    .symbol:         _ZN9rocsparseL24bsrsm_lower_large_kernelILj1024ELj16ELb0E21rocsparse_complex_numIdEEEviiPKiS4_PKT2_iPS5_iPiS4_S9_21rocsparse_index_base_20rocsparse_diag_type_20rocsparse_direction_.kd
    .uniform_work_group_size: 1
    .uses_dynamic_stack: false
    .vgpr_count:     24
    .vgpr_spill_count: 0
    .wavefront_size: 32
amdhsa.target:   amdgcn-amd-amdhsa--gfx1250
amdhsa.version:
  - 1
  - 2
...

	.end_amdgpu_metadata
